;; amdgpu-corpus repo=zjin-lcf/HeCBench kind=compiled arch=gfx1250 opt=O3
	.amdgcn_target "amdgcn-amd-amdhsa--gfx1250"
	.amdhsa_code_object_version 6
	.text
	.protected	_Z13kernel0_writePcm    ; -- Begin function _Z13kernel0_writePcm
	.globl	_Z13kernel0_writePcm
	.p2align	8
	.type	_Z13kernel0_writePcm,@function
_Z13kernel0_writePcm:                   ; @_Z13kernel0_writePcm
; %bb.0:
	s_clause 0x1
	s_load_b32 s4, s[0:1], 0x1c
	s_load_b64 s[2:3], s[0:1], 0x8
	s_bfe_u32 s5, ttmp6, 0x4000c
	s_and_b32 s6, ttmp6, 15
	s_add_co_i32 s5, s5, 1
	s_getreg_b32 s8, hwreg(HW_REG_IB_STS2, 6, 4)
	s_mul_i32 s5, ttmp9, s5
	s_delay_alu instid0(SALU_CYCLE_1)
	s_add_co_i32 s6, s6, s5
	s_wait_kmcnt 0x0
	s_and_b32 s7, s4, 0xffff
	s_cmp_eq_u32 s8, 0
	s_cselect_b32 s4, ttmp9, s6
	s_lshr_b64 s[2:3], s[2:3], 20
	v_mad_u32 v0, s4, s7, v0
	s_mov_b32 s6, 0
	s_mov_b32 s4, exec_lo
	s_delay_alu instid0(VALU_DEP_1) | instskip(NEXT) | instid1(VALU_DEP_1)
	v_ashrrev_i32_e32 v1, 31, v0
	v_cmpx_gt_u64_e64 s[2:3], v[0:1]
	s_cbranch_execz .LBB0_21
; %bb.1:
	s_add_nc_u64 s[8:9], s[0:1], 16
	v_mov_b64_e32 v[2:3], 1
	s_load_b32 s10, s[8:9], 0x0
	s_load_b64 s[4:5], s[0:1], 0x0
	v_mov_b32_e32 v5, 0
	s_wait_kmcnt 0x0
	s_mul_i32 s0, s10, s7
	s_branch .LBB0_3
.LBB0_2:                                ;   in Loop: Header=BB0_3 Depth=1
	s_or_b32 exec_lo, exec_lo, s7
	v_add_nc_u32_e32 v0, s0, v0
	s_delay_alu instid0(VALU_DEP_1) | instskip(NEXT) | instid1(VALU_DEP_1)
	v_ashrrev_i32_e32 v1, 31, v0
	v_cmp_le_u64_e32 vcc_lo, s[2:3], v[0:1]
	s_or_b32 s6, vcc_lo, s6
	s_delay_alu instid0(SALU_CYCLE_1)
	s_and_not1_b32 exec_lo, exec_lo, s6
	s_cbranch_execz .LBB0_21
.LBB0_3:                                ; =>This Loop Header: Depth=1
                                        ;     Child Loop BB0_7 Depth 2
                                        ;       Child Loop BB0_13 Depth 3
	v_dual_mov_b32 v1, 8 :: v_dual_lshlrev_b32 v10, 20, v0
	s_mov_b32 s7, 0
                                        ; implicit-def: $sgpr8
	s_delay_alu instid0(VALU_DEP_1) | instskip(SKIP_2) | instid1(VALU_DEP_1)
	v_dual_mov_b32 v4, 2 :: v_dual_ashrrev_i32 v11, 31, v10
	global_store_b64 v10, v[2:3], s[4:5]
	v_add_nc_u64_e32 v[6:7], s[4:5], v[10:11]
	v_add_nc_u64_e32 v[8:9], 0x100000, v[6:7]
	s_delay_alu instid0(VALU_DEP_1)
	v_cmp_lt_u64_e64 s1, v[6:7], v[8:9]
	s_mov_b32 s10, s1
	s_branch .LBB0_7
.LBB0_4:                                ;   in Loop: Header=BB0_7 Depth=2
	s_or_b32 exec_lo, exec_lo, s10
	s_delay_alu instid0(SALU_CYCLE_1)
	s_or_not1_b32 s10, s12, exec_lo
.LBB0_5:                                ;   in Loop: Header=BB0_7 Depth=2
	s_or_b32 exec_lo, exec_lo, s11
	s_delay_alu instid0(SALU_CYCLE_1) | instskip(SKIP_1) | instid1(SALU_CYCLE_1)
	s_and_not1_b32 s8, s8, exec_lo
	s_and_b32 s10, s10, exec_lo
	s_or_b32 s8, s8, s10
                                        ; implicit-def: $sgpr10
.LBB0_6:                                ;   in Loop: Header=BB0_7 Depth=2
	s_or_b32 exec_lo, exec_lo, s9
	s_delay_alu instid0(SALU_CYCLE_1) | instskip(NEXT) | instid1(SALU_CYCLE_1)
	s_and_b32 s9, exec_lo, s8
	s_or_b32 s7, s9, s7
	s_or_b32 s10, s10, exec_lo
	s_and_not1_b32 exec_lo, exec_lo, s7
	s_cbranch_execz .LBB0_2
.LBB0_7:                                ;   Parent Loop BB0_3 Depth=1
                                        ; =>  This Loop Header: Depth=2
                                        ;       Child Loop BB0_13 Depth 3
	s_or_b32 s8, s8, exec_lo
	s_wait_xcnt 0x0
	s_and_saveexec_b32 s9, s10
	s_cbranch_execz .LBB0_6
; %bb.8:                                ;   in Loop: Header=BB0_7 Depth=2
	v_dual_mov_b32 v11, v7 :: v_dual_bitop2_b32 v10, v6, v1 bitop3:0x54
	s_mov_b32 s10, -1
	s_mov_b32 s12, -1
	s_mov_b32 s11, exec_lo
	s_delay_alu instid0(VALU_DEP_1)
	v_cmpx_eq_u64_e64 v[6:7], v[10:11]
	s_cbranch_execz .LBB0_18
; %bb.9:                                ;   in Loop: Header=BB0_7 Depth=2
	v_lshlrev_b32_e32 v12, 1, v1
	s_mov_b32 s13, 0
	s_mov_b32 s12, exec_lo
                                        ; implicit-def: $vgpr10_vgpr11
                                        ; implicit-def: $vgpr1
	s_delay_alu instid0(VALU_DEP_1)
	v_cmpx_ne_u32_e32 0, v12
	s_cbranch_execz .LBB0_17
; %bb.10:                               ;   in Loop: Header=BB0_7 Depth=2
                                        ; implicit-def: $sgpr14
                                        ; implicit-def: $sgpr15
                                        ; implicit-def: $sgpr16
	s_branch .LBB0_13
.LBB0_11:                               ;   in Loop: Header=BB0_13 Depth=3
	s_or_b32 exec_lo, exec_lo, s20
	s_delay_alu instid0(SALU_CYCLE_1)
	s_and_not1_b32 s16, s16, exec_lo
	s_and_b32 s19, s19, exec_lo
	s_and_not1_b32 s15, s15, exec_lo
	s_and_b32 s18, s18, exec_lo
	s_or_b32 s16, s16, s19
	s_or_b32 s15, s15, s18
.LBB0_12:                               ;   in Loop: Header=BB0_13 Depth=3
	s_or_b32 exec_lo, exec_lo, s17
	s_xor_b32 s17, s16, -1
	s_and_b32 s18, exec_lo, s15
	s_delay_alu instid0(SALU_CYCLE_1) | instskip(SKIP_2) | instid1(SALU_CYCLE_1)
	s_or_b32 s13, s18, s13
	s_and_not1_b32 s14, s14, exec_lo
	s_and_b32 s17, s17, exec_lo
	s_or_b32 s14, s14, s17
	s_and_not1_b32 exec_lo, exec_lo, s13
	s_cbranch_execz .LBB0_16
.LBB0_13:                               ;   Parent Loop BB0_3 Depth=1
                                        ;     Parent Loop BB0_7 Depth=2
                                        ; =>    This Inner Loop Header: Depth=3
	v_mov_b32_e32 v1, v12
	s_or_b32 s16, s16, exec_lo
	s_or_b32 s15, s15, exec_lo
                                        ; implicit-def: $vgpr12
                                        ; implicit-def: $vgpr10_vgpr11
	s_and_saveexec_b32 s17, s1
	s_cbranch_execz .LBB0_12
; %bb.14:                               ;   in Loop: Header=BB0_13 Depth=3
	v_dual_mov_b32 v11, v7 :: v_dual_bitop2_b32 v10, v6, v1 bitop3:0x54
	s_mov_b32 s18, -1
	s_mov_b32 s19, 0
	s_mov_b32 s20, exec_lo
                                        ; implicit-def: $vgpr12
	s_delay_alu instid0(VALU_DEP_1)
	v_cmpx_eq_u64_e64 v[6:7], v[10:11]
	s_cbranch_execz .LBB0_11
; %bb.15:                               ;   in Loop: Header=BB0_13 Depth=3
	v_lshlrev_b32_e32 v12, 1, v1
	s_mov_b32 s19, exec_lo
	s_delay_alu instid0(VALU_DEP_1)
	v_cmp_eq_u32_e32 vcc_lo, 0, v12
	s_or_not1_b32 s18, vcc_lo, exec_lo
	s_branch .LBB0_11
.LBB0_16:                               ;   in Loop: Header=BB0_7 Depth=2
	s_or_b32 exec_lo, exec_lo, s13
	s_delay_alu instid0(SALU_CYCLE_1)
	s_and_b32 s13, s14, exec_lo
.LBB0_17:                               ;   in Loop: Header=BB0_7 Depth=2
	s_or_b32 exec_lo, exec_lo, s12
	s_delay_alu instid0(SALU_CYCLE_1)
	s_or_not1_b32 s12, s13, exec_lo
.LBB0_18:                               ;   in Loop: Header=BB0_7 Depth=2
	s_or_b32 exec_lo, exec_lo, s11
	s_and_saveexec_b32 s11, s12
	s_cbranch_execz .LBB0_5
; %bb.19:                               ;   in Loop: Header=BB0_7 Depth=2
	s_mov_b32 s12, -1
	s_mov_b32 s10, exec_lo
	v_cmpx_lt_u64_e64 v[10:11], v[8:9]
	s_cbranch_execz .LBB0_4
; %bb.20:                               ;   in Loop: Header=BB0_7 Depth=2
	v_lshlrev_b32_e32 v1, 1, v1
	flat_store_b64 v[10:11], v[4:5]
	s_wait_xcnt 0x0
	v_lshlrev_b32_e32 v4, 1, v4
	v_cmp_eq_u32_e32 vcc_lo, 0, v1
	s_or_not1_b32 s12, vcc_lo, exec_lo
	s_branch .LBB0_4
.LBB0_21:
	s_endpgm
	.section	.rodata,"a",@progbits
	.p2align	6, 0x0
	.amdhsa_kernel _Z13kernel0_writePcm
		.amdhsa_group_segment_fixed_size 0
		.amdhsa_private_segment_fixed_size 0
		.amdhsa_kernarg_size 272
		.amdhsa_user_sgpr_count 2
		.amdhsa_user_sgpr_dispatch_ptr 0
		.amdhsa_user_sgpr_queue_ptr 0
		.amdhsa_user_sgpr_kernarg_segment_ptr 1
		.amdhsa_user_sgpr_dispatch_id 0
		.amdhsa_user_sgpr_kernarg_preload_length 0
		.amdhsa_user_sgpr_kernarg_preload_offset 0
		.amdhsa_user_sgpr_private_segment_size 0
		.amdhsa_wavefront_size32 1
		.amdhsa_uses_dynamic_stack 0
		.amdhsa_enable_private_segment 0
		.amdhsa_system_sgpr_workgroup_id_x 1
		.amdhsa_system_sgpr_workgroup_id_y 0
		.amdhsa_system_sgpr_workgroup_id_z 0
		.amdhsa_system_sgpr_workgroup_info 0
		.amdhsa_system_vgpr_workitem_id 0
		.amdhsa_next_free_vgpr 13
		.amdhsa_next_free_sgpr 21
		.amdhsa_named_barrier_count 0
		.amdhsa_reserve_vcc 1
		.amdhsa_float_round_mode_32 0
		.amdhsa_float_round_mode_16_64 0
		.amdhsa_float_denorm_mode_32 3
		.amdhsa_float_denorm_mode_16_64 3
		.amdhsa_fp16_overflow 0
		.amdhsa_memory_ordered 1
		.amdhsa_forward_progress 1
		.amdhsa_inst_pref_size 6
		.amdhsa_round_robin_scheduling 0
		.amdhsa_exception_fp_ieee_invalid_op 0
		.amdhsa_exception_fp_denorm_src 0
		.amdhsa_exception_fp_ieee_div_zero 0
		.amdhsa_exception_fp_ieee_overflow 0
		.amdhsa_exception_fp_ieee_underflow 0
		.amdhsa_exception_fp_ieee_inexact 0
		.amdhsa_exception_int_div_zero 0
	.end_amdhsa_kernel
	.text
.Lfunc_end0:
	.size	_Z13kernel0_writePcm, .Lfunc_end0-_Z13kernel0_writePcm
                                        ; -- End function
	.set _Z13kernel0_writePcm.num_vgpr, 13
	.set _Z13kernel0_writePcm.num_agpr, 0
	.set _Z13kernel0_writePcm.numbered_sgpr, 21
	.set _Z13kernel0_writePcm.num_named_barrier, 0
	.set _Z13kernel0_writePcm.private_seg_size, 0
	.set _Z13kernel0_writePcm.uses_vcc, 1
	.set _Z13kernel0_writePcm.uses_flat_scratch, 0
	.set _Z13kernel0_writePcm.has_dyn_sized_stack, 0
	.set _Z13kernel0_writePcm.has_recursion, 0
	.set _Z13kernel0_writePcm.has_indirect_call, 0
	.section	.AMDGPU.csdata,"",@progbits
; Kernel info:
; codeLenInByte = 652
; TotalNumSgprs: 23
; NumVgprs: 13
; ScratchSize: 0
; MemoryBound: 0
; FloatMode: 240
; IeeeMode: 1
; LDSByteSize: 0 bytes/workgroup (compile time only)
; SGPRBlocks: 0
; VGPRBlocks: 0
; NumSGPRsForWavesPerEU: 23
; NumVGPRsForWavesPerEU: 13
; NamedBarCnt: 0
; Occupancy: 16
; WaveLimiterHint : 0
; COMPUTE_PGM_RSRC2:SCRATCH_EN: 0
; COMPUTE_PGM_RSRC2:USER_SGPR: 2
; COMPUTE_PGM_RSRC2:TRAP_HANDLER: 0
; COMPUTE_PGM_RSRC2:TGID_X_EN: 1
; COMPUTE_PGM_RSRC2:TGID_Y_EN: 0
; COMPUTE_PGM_RSRC2:TGID_Z_EN: 0
; COMPUTE_PGM_RSRC2:TIDIG_COMP_CNT: 0
	.text
	.protected	_Z12kernel0_readPKcmPjPmS2_S2_S2_ ; -- Begin function _Z12kernel0_readPKcmPjPmS2_S2_S2_
	.globl	_Z12kernel0_readPKcmPjPmS2_S2_S2_
	.p2align	8
	.type	_Z12kernel0_readPKcmPjPmS2_S2_S2_,@function
_Z12kernel0_readPKcmPjPmS2_S2_S2_:      ; @_Z12kernel0_readPKcmPjPmS2_S2_S2_
; %bb.0:
	s_clause 0x1
	s_load_b32 s4, s[0:1], 0x44
	s_load_b64 s[2:3], s[0:1], 0x8
	s_bfe_u32 s5, ttmp6, 0x4000c
	s_and_b32 s6, ttmp6, 15
	s_add_co_i32 s5, s5, 1
	s_getreg_b32 s7, hwreg(HW_REG_IB_STS2, 6, 4)
	s_mul_i32 s5, ttmp9, s5
	s_mov_b32 s16, 0
	s_add_co_i32 s6, s6, s5
	s_wait_kmcnt 0x0
	s_and_b32 s17, s4, 0xffff
	s_cmp_eq_u32 s7, 0
	s_cselect_b32 s4, ttmp9, s6
	s_lshr_b64 s[2:3], s[2:3], 20
	v_mad_u32 v0, s4, s17, v0
	s_mov_b32 s4, exec_lo
	s_delay_alu instid0(VALU_DEP_1) | instskip(NEXT) | instid1(VALU_DEP_1)
	v_ashrrev_i32_e32 v1, 31, v0
	v_cmpx_gt_u64_e64 s[2:3], v[0:1]
	s_cbranch_execz .LBB1_29
; %bb.1:
	s_add_nc_u64 s[18:19], s[0:1], 56
	s_load_b64 s[12:13], s[0:1], 0x0
	s_load_b32 s20, s[18:19], 0x0
	s_clause 0x1
	s_load_b256 s[4:11], s[0:1], 0x10
	s_load_b64 s[14:15], s[0:1], 0x30
	v_mov_b64_e32 v[2:3], 1
	v_mov_b32_e32 v5, 0
	s_wait_kmcnt 0x0
	s_mul_i32 s1, s20, s17
	s_branch .LBB1_3
.LBB1_2:                                ;   in Loop: Header=BB1_3 Depth=1
	s_or_b32 exec_lo, exec_lo, s17
	v_add_nc_u32_e32 v0, s1, v0
	s_delay_alu instid0(VALU_DEP_1) | instskip(NEXT) | instid1(VALU_DEP_1)
	v_ashrrev_i32_e32 v1, 31, v0
	v_cmp_le_u64_e32 vcc_lo, s[2:3], v[0:1]
	s_or_b32 s16, vcc_lo, s16
	s_delay_alu instid0(SALU_CYCLE_1)
	s_and_not1_b32 exec_lo, exec_lo, s16
	s_cbranch_execz .LBB1_29
.LBB1_3:                                ; =>This Loop Header: Depth=1
                                        ;     Child Loop BB1_13 Depth 2
                                        ;       Child Loop BB1_19 Depth 3
	v_lshlrev_b32_e32 v6, 20, v0
	s_mov_b32 s0, exec_lo
	global_load_b64 v[8:9], v6, s[12:13]
	v_ashrrev_i32_e32 v7, 31, v6
	s_wait_xcnt 0x0
	s_delay_alu instid0(VALU_DEP_1)
	v_add_nc_u64_e32 v[6:7], s[12:13], v[6:7]
	s_wait_loadcnt 0x0
	v_cmpx_ne_u64_e32 1, v[8:9]
	s_xor_b32 s0, exec_lo, s0
	s_cbranch_execz .LBB1_7
; %bb.4:                                ;   in Loop: Header=BB1_3 Depth=1
	s_mov_b32 s18, exec_lo
	s_mov_b32 s17, exec_lo
	v_mbcnt_lo_u32_b32 v1, s18, 0
                                        ; implicit-def: $vgpr4
	s_delay_alu instid0(VALU_DEP_1)
	v_cmpx_eq_u32_e32 0, v1
	s_cbranch_execz .LBB1_6
; %bb.5:                                ;   in Loop: Header=BB1_3 Depth=1
	s_bcnt1_i32_b32 s18, s18
	s_delay_alu instid0(SALU_CYCLE_1)
	v_mov_b32_e32 v4, s18
	global_atomic_add_u32 v4, v5, v4, s[4:5] th:TH_ATOMIC_RETURN scope:SCOPE_DEV
.LBB1_6:                                ;   in Loop: Header=BB1_3 Depth=1
	s_wait_xcnt 0x0
	s_or_b32 exec_lo, exec_lo, s17
	s_wait_loadcnt 0x0
	v_readfirstlane_b32 s17, v4
	s_delay_alu instid0(VALU_DEP_1) | instskip(NEXT) | instid1(VALU_DEP_1)
	v_add_nc_u32_e32 v1, s17, v1
	v_mul_hi_u32 v4, 0xcccccccd, v1
	s_delay_alu instid0(VALU_DEP_1) | instskip(NEXT) | instid1(VALU_DEP_1)
	v_lshrrev_b32_e32 v4, 3, v4
	v_mul_lo_u32 v4, v4, 10
	s_delay_alu instid0(VALU_DEP_1)
	v_sub_nc_u32_e32 v1, v1, v4
	s_clause 0x3
	global_store_b64 v1, v[6:7], s[6:7] scale_offset
	global_store_b64 v1, v[2:3], s[8:9] scale_offset
	;; [unrolled: 1-line block ×4, first 2 shown]
.LBB1_7:                                ;   in Loop: Header=BB1_3 Depth=1
	s_wait_xcnt 0x0
	s_and_not1_saveexec_b32 s0, s0
	s_delay_alu instid0(SALU_CYCLE_1) | instskip(SKIP_4) | instid1(VALU_DEP_3)
	s_or_b32 exec_lo, exec_lo, s0
	v_add_nc_u64_e32 v[8:9], 0x100000, v[6:7]
	v_mov_b64_e32 v[10:11], v[6:7]
	v_dual_mov_b32 v1, 8 :: v_dual_mov_b32 v4, 2
	s_mov_b32 s17, 0
                                        ; implicit-def: $sgpr18
	v_cmp_lt_u64_e32 vcc_lo, v[6:7], v[8:9]
	s_branch .LBB1_13
.LBB1_8:                                ;   in Loop: Header=BB1_13 Depth=2
	s_wait_xcnt 0x0
	s_or_b32 exec_lo, exec_lo, s23
	s_wait_loadcnt 0x0
	v_readfirstlane_b32 s0, v15
	s_delay_alu instid0(VALU_DEP_1) | instskip(NEXT) | instid1(VALU_DEP_1)
	v_add_nc_u32_e32 v14, s0, v14
	v_mul_hi_u32 v15, 0xcccccccd, v14
	s_delay_alu instid0(VALU_DEP_1) | instskip(NEXT) | instid1(VALU_DEP_1)
	v_lshrrev_b32_e32 v15, 3, v15
	v_mul_lo_u32 v15, v15, 10
	s_delay_alu instid0(VALU_DEP_1)
	v_sub_nc_u32_e32 v14, v14, v15
	s_clause 0x3
	global_store_b64 v14, v[10:11], s[6:7] scale_offset
	global_store_b64 v14, v[4:5], s[8:9] scale_offset
	;; [unrolled: 1-line block ×4, first 2 shown]
.LBB1_9:                                ;   in Loop: Header=BB1_13 Depth=2
	s_wait_xcnt 0x0
	s_or_b32 exec_lo, exec_lo, s22
	v_dual_lshlrev_b32 v1, 1, v1 :: v_dual_lshlrev_b32 v4, 1, v4
	s_delay_alu instid0(VALU_DEP_1)
	v_cmp_eq_u32_e64 s0, 0, v1
	s_or_not1_b32 s22, s0, exec_lo
.LBB1_10:                               ;   in Loop: Header=BB1_13 Depth=2
	s_or_b32 exec_lo, exec_lo, s20
	s_delay_alu instid0(SALU_CYCLE_1)
	s_or_not1_b32 s20, s22, exec_lo
.LBB1_11:                               ;   in Loop: Header=BB1_13 Depth=2
	s_or_b32 exec_lo, exec_lo, s21
	s_delay_alu instid0(SALU_CYCLE_1) | instskip(SKIP_1) | instid1(SALU_CYCLE_1)
	s_and_not1_b32 s0, s18, exec_lo
	s_and_b32 s18, s20, exec_lo
	s_or_b32 s18, s0, s18
.LBB1_12:                               ;   in Loop: Header=BB1_13 Depth=2
	s_or_b32 exec_lo, exec_lo, s19
	s_delay_alu instid0(SALU_CYCLE_1) | instskip(NEXT) | instid1(SALU_CYCLE_1)
	s_and_b32 s0, exec_lo, s18
	s_or_b32 s17, s0, s17
	s_delay_alu instid0(SALU_CYCLE_1)
	s_and_not1_b32 exec_lo, exec_lo, s17
	s_cbranch_execz .LBB1_2
.LBB1_13:                               ;   Parent Loop BB1_3 Depth=1
                                        ; =>  This Loop Header: Depth=2
                                        ;       Child Loop BB1_19 Depth 3
	s_delay_alu instid0(VALU_DEP_3)
	v_cmp_lt_u64_e64 s0, v[10:11], v[8:9]
	s_or_b32 s18, s18, exec_lo
                                        ; implicit-def: $vgpr10_vgpr11
	s_and_saveexec_b32 s19, s0
	s_cbranch_execz .LBB1_12
; %bb.14:                               ;   in Loop: Header=BB1_13 Depth=2
	v_dual_mov_b32 v11, v7 :: v_dual_bitop2_b32 v10, v6, v1 bitop3:0x54
	s_mov_b32 s20, -1
	s_mov_b32 s22, -1
	s_mov_b32 s21, exec_lo
	s_delay_alu instid0(VALU_DEP_1)
	v_cmpx_eq_u64_e64 v[6:7], v[10:11]
	s_cbranch_execz .LBB1_24
; %bb.15:                               ;   in Loop: Header=BB1_13 Depth=2
	v_lshlrev_b32_e32 v12, 1, v1
	s_mov_b32 s23, 0
	s_mov_b32 s22, exec_lo
                                        ; implicit-def: $vgpr10_vgpr11
                                        ; implicit-def: $vgpr1
	s_delay_alu instid0(VALU_DEP_1)
	v_cmpx_ne_u32_e32 0, v12
	s_cbranch_execz .LBB1_23
; %bb.16:                               ;   in Loop: Header=BB1_13 Depth=2
                                        ; implicit-def: $sgpr24
                                        ; implicit-def: $sgpr25
                                        ; implicit-def: $sgpr26
	s_branch .LBB1_19
.LBB1_17:                               ;   in Loop: Header=BB1_19 Depth=3
	s_or_b32 exec_lo, exec_lo, s30
	s_delay_alu instid0(SALU_CYCLE_1)
	s_and_not1_b32 s0, s26, exec_lo
	s_and_b32 s26, s29, exec_lo
	s_and_not1_b32 s25, s25, exec_lo
	s_and_b32 s28, s28, exec_lo
	s_or_b32 s26, s0, s26
	s_or_b32 s25, s25, s28
.LBB1_18:                               ;   in Loop: Header=BB1_19 Depth=3
	s_or_b32 exec_lo, exec_lo, s27
	s_xor_b32 s0, s26, -1
	s_and_b32 s27, exec_lo, s25
	s_delay_alu instid0(SALU_CYCLE_1) | instskip(SKIP_2) | instid1(SALU_CYCLE_1)
	s_or_b32 s23, s27, s23
	s_and_not1_b32 s24, s24, exec_lo
	s_and_b32 s0, s0, exec_lo
	s_or_b32 s24, s24, s0
	s_and_not1_b32 exec_lo, exec_lo, s23
	s_cbranch_execz .LBB1_22
.LBB1_19:                               ;   Parent Loop BB1_3 Depth=1
                                        ;     Parent Loop BB1_13 Depth=2
                                        ; =>    This Inner Loop Header: Depth=3
	v_mov_b32_e32 v1, v12
	s_or_b32 s26, s26, exec_lo
	s_or_b32 s25, s25, exec_lo
                                        ; implicit-def: $vgpr12
                                        ; implicit-def: $vgpr10_vgpr11
	s_and_saveexec_b32 s27, vcc_lo
	s_cbranch_execz .LBB1_18
; %bb.20:                               ;   in Loop: Header=BB1_19 Depth=3
	v_dual_mov_b32 v11, v7 :: v_dual_bitop2_b32 v10, v6, v1 bitop3:0x54
	s_mov_b32 s28, -1
	s_mov_b32 s29, 0
	s_mov_b32 s30, exec_lo
                                        ; implicit-def: $vgpr12
	s_delay_alu instid0(VALU_DEP_1)
	v_cmpx_eq_u64_e64 v[6:7], v[10:11]
	s_cbranch_execz .LBB1_17
; %bb.21:                               ;   in Loop: Header=BB1_19 Depth=3
	v_lshlrev_b32_e32 v12, 1, v1
	s_mov_b32 s29, exec_lo
	s_delay_alu instid0(VALU_DEP_1)
	v_cmp_eq_u32_e64 s0, 0, v12
	s_or_not1_b32 s28, s0, exec_lo
	s_branch .LBB1_17
.LBB1_22:                               ;   in Loop: Header=BB1_13 Depth=2
	s_or_b32 exec_lo, exec_lo, s23
	s_delay_alu instid0(SALU_CYCLE_1)
	s_and_b32 s23, s24, exec_lo
.LBB1_23:                               ;   in Loop: Header=BB1_13 Depth=2
	s_or_b32 exec_lo, exec_lo, s22
	s_delay_alu instid0(SALU_CYCLE_1)
	s_or_not1_b32 s22, s23, exec_lo
.LBB1_24:                               ;   in Loop: Header=BB1_13 Depth=2
	s_or_b32 exec_lo, exec_lo, s21
	s_and_saveexec_b32 s21, s22
	s_cbranch_execz .LBB1_11
; %bb.25:                               ;   in Loop: Header=BB1_13 Depth=2
	s_mov_b32 s22, -1
	s_mov_b32 s20, exec_lo
	v_cmpx_lt_u64_e64 v[10:11], v[8:9]
	s_cbranch_execz .LBB1_10
; %bb.26:                               ;   in Loop: Header=BB1_13 Depth=2
	flat_load_b64 v[12:13], v[10:11]
	s_mov_b32 s22, exec_lo
	s_wait_loadcnt_dscnt 0x0
	v_cmpx_ne_u64_e64 v[12:13], v[4:5]
	s_cbranch_execz .LBB1_9
; %bb.27:                               ;   in Loop: Header=BB1_13 Depth=2
	s_mov_b32 s24, exec_lo
	s_mov_b32 s23, exec_lo
	v_mbcnt_lo_u32_b32 v14, s24, 0
                                        ; implicit-def: $vgpr15
	s_delay_alu instid0(VALU_DEP_1)
	v_cmpx_eq_u32_e32 0, v14
	s_cbranch_execz .LBB1_8
; %bb.28:                               ;   in Loop: Header=BB1_13 Depth=2
	s_bcnt1_i32_b32 s0, s24
	s_delay_alu instid0(SALU_CYCLE_1)
	v_mov_b32_e32 v15, s0
	global_atomic_add_u32 v15, v5, v15, s[4:5] th:TH_ATOMIC_RETURN scope:SCOPE_DEV
	s_branch .LBB1_8
.LBB1_29:
	s_endpgm
	.section	.rodata,"a",@progbits
	.p2align	6, 0x0
	.amdhsa_kernel _Z12kernel0_readPKcmPjPmS2_S2_S2_
		.amdhsa_group_segment_fixed_size 0
		.amdhsa_private_segment_fixed_size 0
		.amdhsa_kernarg_size 312
		.amdhsa_user_sgpr_count 2
		.amdhsa_user_sgpr_dispatch_ptr 0
		.amdhsa_user_sgpr_queue_ptr 0
		.amdhsa_user_sgpr_kernarg_segment_ptr 1
		.amdhsa_user_sgpr_dispatch_id 0
		.amdhsa_user_sgpr_kernarg_preload_length 0
		.amdhsa_user_sgpr_kernarg_preload_offset 0
		.amdhsa_user_sgpr_private_segment_size 0
		.amdhsa_wavefront_size32 1
		.amdhsa_uses_dynamic_stack 0
		.amdhsa_enable_private_segment 0
		.amdhsa_system_sgpr_workgroup_id_x 1
		.amdhsa_system_sgpr_workgroup_id_y 0
		.amdhsa_system_sgpr_workgroup_id_z 0
		.amdhsa_system_sgpr_workgroup_info 0
		.amdhsa_system_vgpr_workitem_id 0
		.amdhsa_next_free_vgpr 16
		.amdhsa_next_free_sgpr 31
		.amdhsa_named_barrier_count 0
		.amdhsa_reserve_vcc 1
		.amdhsa_float_round_mode_32 0
		.amdhsa_float_round_mode_16_64 0
		.amdhsa_float_denorm_mode_32 3
		.amdhsa_float_denorm_mode_16_64 3
		.amdhsa_fp16_overflow 0
		.amdhsa_memory_ordered 1
		.amdhsa_forward_progress 1
		.amdhsa_inst_pref_size 9
		.amdhsa_round_robin_scheduling 0
		.amdhsa_exception_fp_ieee_invalid_op 0
		.amdhsa_exception_fp_denorm_src 0
		.amdhsa_exception_fp_ieee_div_zero 0
		.amdhsa_exception_fp_ieee_overflow 0
		.amdhsa_exception_fp_ieee_underflow 0
		.amdhsa_exception_fp_ieee_inexact 0
		.amdhsa_exception_int_div_zero 0
	.end_amdhsa_kernel
	.text
.Lfunc_end1:
	.size	_Z12kernel0_readPKcmPjPmS2_S2_S2_, .Lfunc_end1-_Z12kernel0_readPKcmPjPmS2_S2_S2_
                                        ; -- End function
	.set _Z12kernel0_readPKcmPjPmS2_S2_S2_.num_vgpr, 16
	.set _Z12kernel0_readPKcmPjPmS2_S2_S2_.num_agpr, 0
	.set _Z12kernel0_readPKcmPjPmS2_S2_S2_.numbered_sgpr, 31
	.set _Z12kernel0_readPKcmPjPmS2_S2_S2_.num_named_barrier, 0
	.set _Z12kernel0_readPKcmPjPmS2_S2_S2_.private_seg_size, 0
	.set _Z12kernel0_readPKcmPjPmS2_S2_S2_.uses_vcc, 1
	.set _Z12kernel0_readPKcmPjPmS2_S2_S2_.uses_flat_scratch, 0
	.set _Z12kernel0_readPKcmPjPmS2_S2_S2_.has_dyn_sized_stack, 0
	.set _Z12kernel0_readPKcmPjPmS2_S2_S2_.has_recursion, 0
	.set _Z12kernel0_readPKcmPjPmS2_S2_S2_.has_indirect_call, 0
	.section	.AMDGPU.csdata,"",@progbits
; Kernel info:
; codeLenInByte = 1076
; TotalNumSgprs: 33
; NumVgprs: 16
; ScratchSize: 0
; MemoryBound: 0
; FloatMode: 240
; IeeeMode: 1
; LDSByteSize: 0 bytes/workgroup (compile time only)
; SGPRBlocks: 0
; VGPRBlocks: 0
; NumSGPRsForWavesPerEU: 33
; NumVGPRsForWavesPerEU: 16
; NamedBarCnt: 0
; Occupancy: 16
; WaveLimiterHint : 0
; COMPUTE_PGM_RSRC2:SCRATCH_EN: 0
; COMPUTE_PGM_RSRC2:USER_SGPR: 2
; COMPUTE_PGM_RSRC2:TRAP_HANDLER: 0
; COMPUTE_PGM_RSRC2:TGID_X_EN: 1
; COMPUTE_PGM_RSRC2:TGID_Y_EN: 0
; COMPUTE_PGM_RSRC2:TGID_Z_EN: 0
; COMPUTE_PGM_RSRC2:TIDIG_COMP_CNT: 0
	.text
	.protected	_Z13kernel1_writePcm    ; -- Begin function _Z13kernel1_writePcm
	.globl	_Z13kernel1_writePcm
	.p2align	8
	.type	_Z13kernel1_writePcm,@function
_Z13kernel1_writePcm:                   ; @_Z13kernel1_writePcm
; %bb.0:
	s_clause 0x1
	s_load_b32 s2, s[0:1], 0x1c
	s_load_b128 s[4:7], s[0:1], 0x0
	s_bfe_u32 s3, ttmp6, 0x4000c
	s_and_b32 s8, ttmp6, 15
	s_add_co_i32 s3, s3, 1
	s_getreg_b32 s9, hwreg(HW_REG_IB_STS2, 6, 4)
	s_mul_i32 s3, ttmp9, s3
	s_delay_alu instid0(SALU_CYCLE_1)
	s_add_co_i32 s8, s8, s3
	s_cmp_eq_u32 s9, 0
	s_cselect_b32 s9, ttmp9, s8
	s_wait_kmcnt 0x0
	s_and_b32 s8, s2, 0xffff
	s_lshr_b64 s[2:3], s[6:7], 3
	v_mad_u32 v2, s9, s8, v0
	s_mov_b32 s6, 0
	s_mov_b32 s7, exec_lo
	s_delay_alu instid0(VALU_DEP_1) | instskip(NEXT) | instid1(VALU_DEP_1)
	v_ashrrev_i32_e32 v3, 31, v2
	v_cmpx_gt_u64_e64 s[2:3], v[2:3]
	s_cbranch_execz .LBB2_3
; %bb.1:
	s_add_nc_u64 s[0:1], s[0:1], 16
	s_load_b32 s0, s[0:1], 0x0
	s_wait_kmcnt 0x0
	s_add_co_i32 s9, s9, s0
	s_mul_i32 s0, s0, s8
	v_mad_u32 v0, s9, s8, v0
	s_ashr_i32 s1, s0, 31
	s_delay_alu instid0(VALU_DEP_1) | instskip(NEXT) | instid1(VALU_DEP_1)
	v_ashrrev_i32_e32 v1, 31, v0
	v_sub_nc_u64_e64 v[0:1], v[0:1], s[0:1]
.LBB2_2:                                ; =>This Inner Loop Header: Depth=1
	s_delay_alu instid0(VALU_DEP_1)
	v_add_nc_u64_e32 v[0:1], s[0:1], v[0:1]
	v_lshl_add_u64 v[4:5], v[2:3], 3, s[4:5]
	global_store_b64 v[4:5], v[4:5], off
	v_cmp_le_u64_e32 vcc_lo, s[2:3], v[0:1]
	v_dual_mov_b32 v2, v0 :: v_dual_ashrrev_i32 v3, 31, v0
	s_or_b32 s6, vcc_lo, s6
	s_wait_xcnt 0x0
	s_and_not1_b32 exec_lo, exec_lo, s6
	s_cbranch_execnz .LBB2_2
.LBB2_3:
	s_endpgm
	.section	.rodata,"a",@progbits
	.p2align	6, 0x0
	.amdhsa_kernel _Z13kernel1_writePcm
		.amdhsa_group_segment_fixed_size 0
		.amdhsa_private_segment_fixed_size 0
		.amdhsa_kernarg_size 272
		.amdhsa_user_sgpr_count 2
		.amdhsa_user_sgpr_dispatch_ptr 0
		.amdhsa_user_sgpr_queue_ptr 0
		.amdhsa_user_sgpr_kernarg_segment_ptr 1
		.amdhsa_user_sgpr_dispatch_id 0
		.amdhsa_user_sgpr_kernarg_preload_length 0
		.amdhsa_user_sgpr_kernarg_preload_offset 0
		.amdhsa_user_sgpr_private_segment_size 0
		.amdhsa_wavefront_size32 1
		.amdhsa_uses_dynamic_stack 0
		.amdhsa_enable_private_segment 0
		.amdhsa_system_sgpr_workgroup_id_x 1
		.amdhsa_system_sgpr_workgroup_id_y 0
		.amdhsa_system_sgpr_workgroup_id_z 0
		.amdhsa_system_sgpr_workgroup_info 0
		.amdhsa_system_vgpr_workitem_id 0
		.amdhsa_next_free_vgpr 6
		.amdhsa_next_free_sgpr 10
		.amdhsa_named_barrier_count 0
		.amdhsa_reserve_vcc 1
		.amdhsa_float_round_mode_32 0
		.amdhsa_float_round_mode_16_64 0
		.amdhsa_float_denorm_mode_32 3
		.amdhsa_float_denorm_mode_16_64 3
		.amdhsa_fp16_overflow 0
		.amdhsa_memory_ordered 1
		.amdhsa_forward_progress 1
		.amdhsa_inst_pref_size 2
		.amdhsa_round_robin_scheduling 0
		.amdhsa_exception_fp_ieee_invalid_op 0
		.amdhsa_exception_fp_denorm_src 0
		.amdhsa_exception_fp_ieee_div_zero 0
		.amdhsa_exception_fp_ieee_overflow 0
		.amdhsa_exception_fp_ieee_underflow 0
		.amdhsa_exception_fp_ieee_inexact 0
		.amdhsa_exception_int_div_zero 0
	.end_amdhsa_kernel
	.text
.Lfunc_end2:
	.size	_Z13kernel1_writePcm, .Lfunc_end2-_Z13kernel1_writePcm
                                        ; -- End function
	.set _Z13kernel1_writePcm.num_vgpr, 6
	.set _Z13kernel1_writePcm.num_agpr, 0
	.set _Z13kernel1_writePcm.numbered_sgpr, 10
	.set _Z13kernel1_writePcm.num_named_barrier, 0
	.set _Z13kernel1_writePcm.private_seg_size, 0
	.set _Z13kernel1_writePcm.uses_vcc, 1
	.set _Z13kernel1_writePcm.uses_flat_scratch, 0
	.set _Z13kernel1_writePcm.has_dyn_sized_stack, 0
	.set _Z13kernel1_writePcm.has_recursion, 0
	.set _Z13kernel1_writePcm.has_indirect_call, 0
	.section	.AMDGPU.csdata,"",@progbits
; Kernel info:
; codeLenInByte = 224
; TotalNumSgprs: 12
; NumVgprs: 6
; ScratchSize: 0
; MemoryBound: 0
; FloatMode: 240
; IeeeMode: 1
; LDSByteSize: 0 bytes/workgroup (compile time only)
; SGPRBlocks: 0
; VGPRBlocks: 0
; NumSGPRsForWavesPerEU: 12
; NumVGPRsForWavesPerEU: 6
; NamedBarCnt: 0
; Occupancy: 16
; WaveLimiterHint : 0
; COMPUTE_PGM_RSRC2:SCRATCH_EN: 0
; COMPUTE_PGM_RSRC2:USER_SGPR: 2
; COMPUTE_PGM_RSRC2:TRAP_HANDLER: 0
; COMPUTE_PGM_RSRC2:TGID_X_EN: 1
; COMPUTE_PGM_RSRC2:TGID_Y_EN: 0
; COMPUTE_PGM_RSRC2:TGID_Z_EN: 0
; COMPUTE_PGM_RSRC2:TIDIG_COMP_CNT: 0
	.text
	.protected	_Z12kernel1_readPKcmPjPmS2_S2_S2_ ; -- Begin function _Z12kernel1_readPKcmPjPmS2_S2_S2_
	.globl	_Z12kernel1_readPKcmPjPmS2_S2_S2_
	.p2align	8
	.type	_Z12kernel1_readPKcmPjPmS2_S2_S2_,@function
_Z12kernel1_readPKcmPjPmS2_S2_S2_:      ; @_Z12kernel1_readPKcmPjPmS2_S2_S2_
; %bb.0:
	s_clause 0x1
	s_load_b32 s4, s[0:1], 0x44
	s_load_b64 s[2:3], s[0:1], 0x8
	s_bfe_u32 s5, ttmp6, 0x4000c
	s_and_b32 s6, ttmp6, 15
	s_add_co_i32 s5, s5, 1
	s_getreg_b32 s7, hwreg(HW_REG_IB_STS2, 6, 4)
	s_mul_i32 s5, ttmp9, s5
	s_mov_b32 s16, 0
	s_add_co_i32 s6, s6, s5
	s_cmp_eq_u32 s7, 0
	s_cselect_b32 s18, ttmp9, s6
	s_wait_kmcnt 0x0
	s_and_b32 s17, s4, 0xffff
	s_lshr_b64 s[2:3], s[2:3], 3
	v_mad_u32 v2, s18, s17, v0
	s_mov_b32 s4, exec_lo
	s_delay_alu instid0(VALU_DEP_1) | instskip(NEXT) | instid1(VALU_DEP_1)
	v_ashrrev_i32_e32 v3, 31, v2
	v_cmpx_gt_u64_e64 s[2:3], v[2:3]
	s_cbranch_execz .LBB3_7
; %bb.1:
	s_add_nc_u64 s[20:21], s[0:1], 56
	v_mov_b32_e32 v6, 0
	s_load_b32 s19, s[20:21], 0x0
	s_clause 0x2
	s_load_b64 s[12:13], s[0:1], 0x0
	s_load_b256 s[4:11], s[0:1], 0x10
	s_load_b64 s[14:15], s[0:1], 0x30
	s_wait_kmcnt 0x0
	s_add_co_i32 s18, s18, s19
	s_mul_i32 s0, s19, s17
	v_mad_u32 v0, s18, s17, v0
	s_branch .LBB3_4
.LBB3_2:                                ;   in Loop: Header=BB3_4 Depth=1
	s_wait_xcnt 0x0
	s_or_b32 exec_lo, exec_lo, s17
	s_wait_loadcnt 0x0
	v_readfirstlane_b32 s17, v7
	s_delay_alu instid0(VALU_DEP_1) | instskip(NEXT) | instid1(VALU_DEP_1)
	v_add_nc_u32_e32 v1, s17, v1
	v_mul_hi_u32 v7, 0xcccccccd, v1
	s_delay_alu instid0(VALU_DEP_1) | instskip(NEXT) | instid1(VALU_DEP_1)
	v_lshrrev_b32_e32 v7, 3, v7
	v_mul_lo_u32 v7, v7, 10
	s_delay_alu instid0(VALU_DEP_1)
	v_sub_nc_u32_e32 v1, v1, v7
	s_clause 0x3
	global_store_b64 v1, v[4:5], s[6:7] scale_offset
	global_store_b64 v1, v[4:5], s[8:9] scale_offset
	;; [unrolled: 1-line block ×4, first 2 shown]
.LBB3_3:                                ;   in Loop: Header=BB3_4 Depth=1
	s_wait_xcnt 0x0
	s_or_b32 exec_lo, exec_lo, s1
	v_ashrrev_i32_e32 v1, 31, v0
	s_delay_alu instid0(VALU_DEP_1) | instskip(SKIP_3) | instid1(SALU_CYCLE_1)
	v_cmp_le_u64_e32 vcc_lo, s[2:3], v[0:1]
	v_mov_b64_e32 v[2:3], v[0:1]
	v_add_nc_u32_e32 v0, s0, v0
	s_or_b32 s16, vcc_lo, s16
	s_and_not1_b32 exec_lo, exec_lo, s16
	s_cbranch_execz .LBB3_7
.LBB3_4:                                ; =>This Inner Loop Header: Depth=1
	s_delay_alu instid0(VALU_DEP_2)
	v_lshl_add_u64 v[4:5], v[2:3], 3, s[12:13]
	s_mov_b32 s1, exec_lo
	global_load_b64 v[2:3], v[4:5], off
	s_wait_loadcnt 0x0
	s_wait_xcnt 0x0
	v_cmpx_ne_u64_e64 v[2:3], v[4:5]
	s_cbranch_execz .LBB3_3
; %bb.5:                                ;   in Loop: Header=BB3_4 Depth=1
	s_mov_b32 s18, exec_lo
	s_mov_b32 s17, exec_lo
	v_mbcnt_lo_u32_b32 v1, s18, 0
                                        ; implicit-def: $vgpr7
	s_delay_alu instid0(VALU_DEP_1)
	v_cmpx_eq_u32_e32 0, v1
	s_cbranch_execz .LBB3_2
; %bb.6:                                ;   in Loop: Header=BB3_4 Depth=1
	s_bcnt1_i32_b32 s18, s18
	s_delay_alu instid0(SALU_CYCLE_1)
	v_mov_b32_e32 v7, s18
	global_atomic_add_u32 v7, v6, v7, s[4:5] th:TH_ATOMIC_RETURN scope:SCOPE_DEV
	s_branch .LBB3_2
.LBB3_7:
	s_endpgm
	.section	.rodata,"a",@progbits
	.p2align	6, 0x0
	.amdhsa_kernel _Z12kernel1_readPKcmPjPmS2_S2_S2_
		.amdhsa_group_segment_fixed_size 0
		.amdhsa_private_segment_fixed_size 0
		.amdhsa_kernarg_size 312
		.amdhsa_user_sgpr_count 2
		.amdhsa_user_sgpr_dispatch_ptr 0
		.amdhsa_user_sgpr_queue_ptr 0
		.amdhsa_user_sgpr_kernarg_segment_ptr 1
		.amdhsa_user_sgpr_dispatch_id 0
		.amdhsa_user_sgpr_kernarg_preload_length 0
		.amdhsa_user_sgpr_kernarg_preload_offset 0
		.amdhsa_user_sgpr_private_segment_size 0
		.amdhsa_wavefront_size32 1
		.amdhsa_uses_dynamic_stack 0
		.amdhsa_enable_private_segment 0
		.amdhsa_system_sgpr_workgroup_id_x 1
		.amdhsa_system_sgpr_workgroup_id_y 0
		.amdhsa_system_sgpr_workgroup_id_z 0
		.amdhsa_system_sgpr_workgroup_info 0
		.amdhsa_system_vgpr_workitem_id 0
		.amdhsa_next_free_vgpr 8
		.amdhsa_next_free_sgpr 22
		.amdhsa_named_barrier_count 0
		.amdhsa_reserve_vcc 1
		.amdhsa_float_round_mode_32 0
		.amdhsa_float_round_mode_16_64 0
		.amdhsa_float_denorm_mode_32 3
		.amdhsa_float_denorm_mode_16_64 3
		.amdhsa_fp16_overflow 0
		.amdhsa_memory_ordered 1
		.amdhsa_forward_progress 1
		.amdhsa_inst_pref_size 4
		.amdhsa_round_robin_scheduling 0
		.amdhsa_exception_fp_ieee_invalid_op 0
		.amdhsa_exception_fp_denorm_src 0
		.amdhsa_exception_fp_ieee_div_zero 0
		.amdhsa_exception_fp_ieee_overflow 0
		.amdhsa_exception_fp_ieee_underflow 0
		.amdhsa_exception_fp_ieee_inexact 0
		.amdhsa_exception_int_div_zero 0
	.end_amdhsa_kernel
	.text
.Lfunc_end3:
	.size	_Z12kernel1_readPKcmPjPmS2_S2_S2_, .Lfunc_end3-_Z12kernel1_readPKcmPjPmS2_S2_S2_
                                        ; -- End function
	.set _Z12kernel1_readPKcmPjPmS2_S2_S2_.num_vgpr, 8
	.set _Z12kernel1_readPKcmPjPmS2_S2_S2_.num_agpr, 0
	.set _Z12kernel1_readPKcmPjPmS2_S2_S2_.numbered_sgpr, 22
	.set _Z12kernel1_readPKcmPjPmS2_S2_S2_.num_named_barrier, 0
	.set _Z12kernel1_readPKcmPjPmS2_S2_S2_.private_seg_size, 0
	.set _Z12kernel1_readPKcmPjPmS2_S2_S2_.uses_vcc, 1
	.set _Z12kernel1_readPKcmPjPmS2_S2_S2_.uses_flat_scratch, 0
	.set _Z12kernel1_readPKcmPjPmS2_S2_S2_.has_dyn_sized_stack, 0
	.set _Z12kernel1_readPKcmPjPmS2_S2_S2_.has_recursion, 0
	.set _Z12kernel1_readPKcmPjPmS2_S2_S2_.has_indirect_call, 0
	.section	.AMDGPU.csdata,"",@progbits
; Kernel info:
; codeLenInByte = 436
; TotalNumSgprs: 24
; NumVgprs: 8
; ScratchSize: 0
; MemoryBound: 0
; FloatMode: 240
; IeeeMode: 1
; LDSByteSize: 0 bytes/workgroup (compile time only)
; SGPRBlocks: 0
; VGPRBlocks: 0
; NumSGPRsForWavesPerEU: 24
; NumVGPRsForWavesPerEU: 8
; NamedBarCnt: 0
; Occupancy: 16
; WaveLimiterHint : 0
; COMPUTE_PGM_RSRC2:SCRATCH_EN: 0
; COMPUTE_PGM_RSRC2:USER_SGPR: 2
; COMPUTE_PGM_RSRC2:TRAP_HANDLER: 0
; COMPUTE_PGM_RSRC2:TGID_X_EN: 1
; COMPUTE_PGM_RSRC2:TGID_Y_EN: 0
; COMPUTE_PGM_RSRC2:TGID_Z_EN: 0
; COMPUTE_PGM_RSRC2:TIDIG_COMP_CNT: 0
	.text
	.protected	_Z12kernel_writePcmm    ; -- Begin function _Z12kernel_writePcmm
	.globl	_Z12kernel_writePcmm
	.p2align	8
	.type	_Z12kernel_writePcmm,@function
_Z12kernel_writePcmm:                   ; @_Z12kernel_writePcmm
; %bb.0:
	s_clause 0x1
	s_load_b32 s2, s[0:1], 0x24
	s_load_b128 s[4:7], s[0:1], 0x0
	s_bfe_u32 s3, ttmp6, 0x4000c
	s_and_b32 s8, ttmp6, 15
	s_add_co_i32 s3, s3, 1
	s_getreg_b32 s9, hwreg(HW_REG_IB_STS2, 6, 4)
	s_mul_i32 s3, ttmp9, s3
	s_delay_alu instid0(SALU_CYCLE_1)
	s_add_co_i32 s8, s8, s3
	s_cmp_eq_u32 s9, 0
	s_cselect_b32 s9, ttmp9, s8
	s_wait_kmcnt 0x0
	s_and_b32 s8, s2, 0xffff
	s_lshr_b64 s[2:3], s[6:7], 3
	v_mad_u32 v2, s9, s8, v0
	s_mov_b32 s6, 0
	s_mov_b32 s7, exec_lo
	s_delay_alu instid0(VALU_DEP_1) | instskip(NEXT) | instid1(VALU_DEP_1)
	v_ashrrev_i32_e32 v3, 31, v2
	v_cmpx_gt_u64_e64 s[2:3], v[2:3]
	s_cbranch_execz .LBB4_3
; %bb.1:
	s_add_nc_u64 s[10:11], s[0:1], 24
	s_load_b32 s7, s[10:11], 0x0
	s_load_b64 s[12:13], s[0:1], 0x10
	s_wait_kmcnt 0x0
	s_add_co_i32 s9, s9, s7
	s_mul_i32 s0, s7, s8
	v_mad_u32 v0, s9, s8, v0
	s_ashr_i32 s1, s0, 31
	v_mov_b64_e32 v[4:5], s[12:13]
	s_delay_alu instid0(VALU_DEP_2) | instskip(NEXT) | instid1(VALU_DEP_1)
	v_ashrrev_i32_e32 v1, 31, v0
	v_sub_nc_u64_e64 v[0:1], v[0:1], s[0:1]
.LBB4_2:                                ; =>This Inner Loop Header: Depth=1
	s_delay_alu instid0(VALU_DEP_1)
	v_add_nc_u64_e32 v[0:1], s[0:1], v[0:1]
	v_lshl_add_u64 v[6:7], v[2:3], 3, s[4:5]
	global_store_b64 v[6:7], v[4:5], off
	v_cmp_le_u64_e32 vcc_lo, s[2:3], v[0:1]
	v_dual_mov_b32 v2, v0 :: v_dual_ashrrev_i32 v3, 31, v0
	s_or_b32 s6, vcc_lo, s6
	s_wait_xcnt 0x0
	s_and_not1_b32 exec_lo, exec_lo, s6
	s_cbranch_execnz .LBB4_2
.LBB4_3:
	s_endpgm
	.section	.rodata,"a",@progbits
	.p2align	6, 0x0
	.amdhsa_kernel _Z12kernel_writePcmm
		.amdhsa_group_segment_fixed_size 0
		.amdhsa_private_segment_fixed_size 0
		.amdhsa_kernarg_size 280
		.amdhsa_user_sgpr_count 2
		.amdhsa_user_sgpr_dispatch_ptr 0
		.amdhsa_user_sgpr_queue_ptr 0
		.amdhsa_user_sgpr_kernarg_segment_ptr 1
		.amdhsa_user_sgpr_dispatch_id 0
		.amdhsa_user_sgpr_kernarg_preload_length 0
		.amdhsa_user_sgpr_kernarg_preload_offset 0
		.amdhsa_user_sgpr_private_segment_size 0
		.amdhsa_wavefront_size32 1
		.amdhsa_uses_dynamic_stack 0
		.amdhsa_enable_private_segment 0
		.amdhsa_system_sgpr_workgroup_id_x 1
		.amdhsa_system_sgpr_workgroup_id_y 0
		.amdhsa_system_sgpr_workgroup_id_z 0
		.amdhsa_system_sgpr_workgroup_info 0
		.amdhsa_system_vgpr_workitem_id 0
		.amdhsa_next_free_vgpr 8
		.amdhsa_next_free_sgpr 14
		.amdhsa_named_barrier_count 0
		.amdhsa_reserve_vcc 1
		.amdhsa_float_round_mode_32 0
		.amdhsa_float_round_mode_16_64 0
		.amdhsa_float_denorm_mode_32 3
		.amdhsa_float_denorm_mode_16_64 3
		.amdhsa_fp16_overflow 0
		.amdhsa_memory_ordered 1
		.amdhsa_forward_progress 1
		.amdhsa_inst_pref_size 2
		.amdhsa_round_robin_scheduling 0
		.amdhsa_exception_fp_ieee_invalid_op 0
		.amdhsa_exception_fp_denorm_src 0
		.amdhsa_exception_fp_ieee_div_zero 0
		.amdhsa_exception_fp_ieee_overflow 0
		.amdhsa_exception_fp_ieee_underflow 0
		.amdhsa_exception_fp_ieee_inexact 0
		.amdhsa_exception_int_div_zero 0
	.end_amdhsa_kernel
	.text
.Lfunc_end4:
	.size	_Z12kernel_writePcmm, .Lfunc_end4-_Z12kernel_writePcmm
                                        ; -- End function
	.set _Z12kernel_writePcmm.num_vgpr, 8
	.set _Z12kernel_writePcmm.num_agpr, 0
	.set _Z12kernel_writePcmm.numbered_sgpr, 14
	.set _Z12kernel_writePcmm.num_named_barrier, 0
	.set _Z12kernel_writePcmm.private_seg_size, 0
	.set _Z12kernel_writePcmm.uses_vcc, 1
	.set _Z12kernel_writePcmm.uses_flat_scratch, 0
	.set _Z12kernel_writePcmm.has_dyn_sized_stack, 0
	.set _Z12kernel_writePcmm.has_recursion, 0
	.set _Z12kernel_writePcmm.has_indirect_call, 0
	.section	.AMDGPU.csdata,"",@progbits
; Kernel info:
; codeLenInByte = 236
; TotalNumSgprs: 16
; NumVgprs: 8
; ScratchSize: 0
; MemoryBound: 0
; FloatMode: 240
; IeeeMode: 1
; LDSByteSize: 0 bytes/workgroup (compile time only)
; SGPRBlocks: 0
; VGPRBlocks: 0
; NumSGPRsForWavesPerEU: 16
; NumVGPRsForWavesPerEU: 8
; NamedBarCnt: 0
; Occupancy: 16
; WaveLimiterHint : 0
; COMPUTE_PGM_RSRC2:SCRATCH_EN: 0
; COMPUTE_PGM_RSRC2:USER_SGPR: 2
; COMPUTE_PGM_RSRC2:TRAP_HANDLER: 0
; COMPUTE_PGM_RSRC2:TGID_X_EN: 1
; COMPUTE_PGM_RSRC2:TGID_Y_EN: 0
; COMPUTE_PGM_RSRC2:TGID_Z_EN: 0
; COMPUTE_PGM_RSRC2:TIDIG_COMP_CNT: 0
	.text
	.protected	_Z17kernel_read_writePcmmmPjPmS1_S1_S1_ ; -- Begin function _Z17kernel_read_writePcmmmPjPmS1_S1_S1_
	.globl	_Z17kernel_read_writePcmmmPjPmS1_S1_S1_
	.p2align	8
	.type	_Z17kernel_read_writePcmmmPjPmS1_S1_S1_,@function
_Z17kernel_read_writePcmmmPjPmS1_S1_S1_: ; @_Z17kernel_read_writePcmmmPjPmS1_S1_S1_
; %bb.0:
	s_clause 0x1
	s_load_b32 s2, s[0:1], 0x54
	s_load_b128 s[12:15], s[0:1], 0x8
	s_bfe_u32 s3, ttmp6, 0x4000c
	s_and_b32 s4, ttmp6, 15
	s_add_co_i32 s3, s3, 1
	s_getreg_b32 s5, hwreg(HW_REG_IB_STS2, 6, 4)
	s_mul_i32 s3, ttmp9, s3
	s_mov_b32 s20, 0
	s_add_co_i32 s4, s4, s3
	s_cmp_eq_u32 s5, 0
	s_cselect_b32 s22, ttmp9, s4
	s_mov_b32 s4, exec_lo
	s_wait_kmcnt 0x0
	s_and_b32 s21, s2, 0xffff
	s_lshr_b64 s[2:3], s[12:13], 3
	v_mad_u32 v4, s22, s21, v0
	s_delay_alu instid0(VALU_DEP_1) | instskip(NEXT) | instid1(VALU_DEP_1)
	v_ashrrev_i32_e32 v5, 31, v4
	v_cmpx_gt_u64_e64 s[2:3], v[4:5]
	s_cbranch_execz .LBB5_7
; %bb.1:
	s_add_nc_u64 s[24:25], s[0:1], 0x48
	v_mov_b32_e32 v8, 0
	s_load_b32 s23, s[24:25], 0x0
	s_clause 0x2
	s_load_b256 s[4:11], s[0:1], 0x18
	s_load_b128 s[16:19], s[0:1], 0x38
	s_load_b64 s[12:13], s[0:1], 0x0
	s_wait_kmcnt 0x0
	s_add_co_i32 s22, s22, s23
	v_mov_b64_e32 v[2:3], s[4:5]
	v_mad_u32 v0, s22, s21, v0
	s_mul_i32 s0, s23, s21
	s_branch .LBB5_4
.LBB5_2:                                ;   in Loop: Header=BB5_4 Depth=1
	s_wait_xcnt 0x0
	s_or_b32 exec_lo, exec_lo, s4
	s_wait_loadcnt 0x0
	v_readfirstlane_b32 s4, v9
	v_mov_b64_e32 v[10:11], s[14:15]
	s_delay_alu instid0(VALU_DEP_2) | instskip(NEXT) | instid1(VALU_DEP_1)
	v_add_nc_u32_e32 v1, s4, v1
	v_mul_hi_u32 v9, 0xcccccccd, v1
	s_delay_alu instid0(VALU_DEP_1) | instskip(NEXT) | instid1(VALU_DEP_1)
	v_lshrrev_b32_e32 v9, 3, v9
	v_mul_lo_u32 v9, v9, 10
	s_delay_alu instid0(VALU_DEP_1)
	v_sub_nc_u32_e32 v1, v1, v9
	s_clause 0x3
	global_store_b64 v1, v[4:5], s[16:17] scale_offset
	global_store_b64 v1, v[6:7], s[8:9] scale_offset
	;; [unrolled: 1-line block ×4, first 2 shown]
.LBB5_3:                                ;   in Loop: Header=BB5_4 Depth=1
	s_wait_xcnt 0x0
	s_or_b32 exec_lo, exec_lo, s1
	v_ashrrev_i32_e32 v1, 31, v0
	global_store_b64 v[6:7], v[2:3], off
	v_cmp_le_u64_e32 vcc_lo, s[2:3], v[0:1]
	v_mov_b64_e32 v[4:5], v[0:1]
	v_add_nc_u32_e32 v0, s0, v0
	s_or_b32 s20, vcc_lo, s20
	s_wait_xcnt 0x0
	s_and_not1_b32 exec_lo, exec_lo, s20
	s_cbranch_execz .LBB5_7
.LBB5_4:                                ; =>This Inner Loop Header: Depth=1
	s_delay_alu instid0(VALU_DEP_2)
	v_lshl_add_u64 v[6:7], v[4:5], 3, s[12:13]
	s_mov_b32 s1, exec_lo
	global_load_b64 v[4:5], v[6:7], off
	s_wait_loadcnt 0x0
	s_wait_xcnt 0x0
	v_cmpx_ne_u64_e64 s[14:15], v[4:5]
	s_cbranch_execz .LBB5_3
; %bb.5:                                ;   in Loop: Header=BB5_4 Depth=1
	s_mov_b32 s5, exec_lo
	s_mov_b32 s4, exec_lo
	v_mbcnt_lo_u32_b32 v1, s5, 0
                                        ; implicit-def: $vgpr9
	s_delay_alu instid0(VALU_DEP_1)
	v_cmpx_eq_u32_e32 0, v1
	s_cbranch_execz .LBB5_2
; %bb.6:                                ;   in Loop: Header=BB5_4 Depth=1
	s_bcnt1_i32_b32 s5, s5
	s_delay_alu instid0(SALU_CYCLE_1)
	v_mov_b32_e32 v9, s5
	global_atomic_add_u32 v9, v8, v9, s[6:7] th:TH_ATOMIC_RETURN scope:SCOPE_DEV
	s_branch .LBB5_2
.LBB5_7:
	s_endpgm
	.section	.rodata,"a",@progbits
	.p2align	6, 0x0
	.amdhsa_kernel _Z17kernel_read_writePcmmmPjPmS1_S1_S1_
		.amdhsa_group_segment_fixed_size 0
		.amdhsa_private_segment_fixed_size 0
		.amdhsa_kernarg_size 328
		.amdhsa_user_sgpr_count 2
		.amdhsa_user_sgpr_dispatch_ptr 0
		.amdhsa_user_sgpr_queue_ptr 0
		.amdhsa_user_sgpr_kernarg_segment_ptr 1
		.amdhsa_user_sgpr_dispatch_id 0
		.amdhsa_user_sgpr_kernarg_preload_length 0
		.amdhsa_user_sgpr_kernarg_preload_offset 0
		.amdhsa_user_sgpr_private_segment_size 0
		.amdhsa_wavefront_size32 1
		.amdhsa_uses_dynamic_stack 0
		.amdhsa_enable_private_segment 0
		.amdhsa_system_sgpr_workgroup_id_x 1
		.amdhsa_system_sgpr_workgroup_id_y 0
		.amdhsa_system_sgpr_workgroup_id_z 0
		.amdhsa_system_sgpr_workgroup_info 0
		.amdhsa_system_vgpr_workitem_id 0
		.amdhsa_next_free_vgpr 12
		.amdhsa_next_free_sgpr 26
		.amdhsa_named_barrier_count 0
		.amdhsa_reserve_vcc 1
		.amdhsa_float_round_mode_32 0
		.amdhsa_float_round_mode_16_64 0
		.amdhsa_float_denorm_mode_32 3
		.amdhsa_float_denorm_mode_16_64 3
		.amdhsa_fp16_overflow 0
		.amdhsa_memory_ordered 1
		.amdhsa_forward_progress 1
		.amdhsa_inst_pref_size 4
		.amdhsa_round_robin_scheduling 0
		.amdhsa_exception_fp_ieee_invalid_op 0
		.amdhsa_exception_fp_denorm_src 0
		.amdhsa_exception_fp_ieee_div_zero 0
		.amdhsa_exception_fp_ieee_overflow 0
		.amdhsa_exception_fp_ieee_underflow 0
		.amdhsa_exception_fp_ieee_inexact 0
		.amdhsa_exception_int_div_zero 0
	.end_amdhsa_kernel
	.text
.Lfunc_end5:
	.size	_Z17kernel_read_writePcmmmPjPmS1_S1_S1_, .Lfunc_end5-_Z17kernel_read_writePcmmmPjPmS1_S1_S1_
                                        ; -- End function
	.set _Z17kernel_read_writePcmmmPjPmS1_S1_S1_.num_vgpr, 12
	.set _Z17kernel_read_writePcmmmPjPmS1_S1_S1_.num_agpr, 0
	.set _Z17kernel_read_writePcmmmPjPmS1_S1_S1_.numbered_sgpr, 26
	.set _Z17kernel_read_writePcmmmPjPmS1_S1_S1_.num_named_barrier, 0
	.set _Z17kernel_read_writePcmmmPjPmS1_S1_S1_.private_seg_size, 0
	.set _Z17kernel_read_writePcmmmPjPmS1_S1_S1_.uses_vcc, 1
	.set _Z17kernel_read_writePcmmmPjPmS1_S1_S1_.uses_flat_scratch, 0
	.set _Z17kernel_read_writePcmmmPjPmS1_S1_S1_.has_dyn_sized_stack, 0
	.set _Z17kernel_read_writePcmmmPjPmS1_S1_S1_.has_recursion, 0
	.set _Z17kernel_read_writePcmmmPjPmS1_S1_S1_.has_indirect_call, 0
	.section	.AMDGPU.csdata,"",@progbits
; Kernel info:
; codeLenInByte = 460
; TotalNumSgprs: 28
; NumVgprs: 12
; ScratchSize: 0
; MemoryBound: 0
; FloatMode: 240
; IeeeMode: 1
; LDSByteSize: 0 bytes/workgroup (compile time only)
; SGPRBlocks: 0
; VGPRBlocks: 0
; NumSGPRsForWavesPerEU: 28
; NumVGPRsForWavesPerEU: 12
; NamedBarCnt: 0
; Occupancy: 16
; WaveLimiterHint : 0
; COMPUTE_PGM_RSRC2:SCRATCH_EN: 0
; COMPUTE_PGM_RSRC2:USER_SGPR: 2
; COMPUTE_PGM_RSRC2:TRAP_HANDLER: 0
; COMPUTE_PGM_RSRC2:TGID_X_EN: 1
; COMPUTE_PGM_RSRC2:TGID_Y_EN: 0
; COMPUTE_PGM_RSRC2:TGID_Z_EN: 0
; COMPUTE_PGM_RSRC2:TIDIG_COMP_CNT: 0
	.text
	.protected	_Z11kernel_readPKcmmPjPmS2_S2_S2_ ; -- Begin function _Z11kernel_readPKcmmPjPmS2_S2_S2_
	.globl	_Z11kernel_readPKcmmPjPmS2_S2_S2_
	.p2align	8
	.type	_Z11kernel_readPKcmmPjPmS2_S2_S2_,@function
_Z11kernel_readPKcmmPjPmS2_S2_S2_:      ; @_Z11kernel_readPKcmmPjPmS2_S2_S2_
; %bb.0:
	s_clause 0x1
	s_load_b32 s2, s[0:1], 0x4c
	s_load_b128 s[12:15], s[0:1], 0x8
	s_bfe_u32 s3, ttmp6, 0x4000c
	s_and_b32 s4, ttmp6, 15
	s_add_co_i32 s3, s3, 1
	s_getreg_b32 s5, hwreg(HW_REG_IB_STS2, 6, 4)
	s_mul_i32 s3, ttmp9, s3
	s_mov_b32 s18, 0
	s_add_co_i32 s4, s4, s3
	s_cmp_eq_u32 s5, 0
	s_cselect_b32 s20, ttmp9, s4
	s_mov_b32 s4, exec_lo
	s_wait_kmcnt 0x0
	s_and_b32 s19, s2, 0xffff
	s_lshr_b64 s[2:3], s[12:13], 3
	v_mad_u32 v2, s20, s19, v0
	s_delay_alu instid0(VALU_DEP_1) | instskip(NEXT) | instid1(VALU_DEP_1)
	v_ashrrev_i32_e32 v3, 31, v2
	v_cmpx_gt_u64_e64 s[2:3], v[2:3]
	s_cbranch_execz .LBB6_7
; %bb.1:
	s_add_nc_u64 s[22:23], s[0:1], 64
	v_mov_b32_e32 v6, 0
	s_load_b32 s21, s[22:23], 0x0
	s_clause 0x2
	s_load_b64 s[12:13], s[0:1], 0x0
	s_load_b256 s[4:11], s[0:1], 0x18
	s_load_b64 s[16:17], s[0:1], 0x38
	s_wait_kmcnt 0x0
	s_add_co_i32 s20, s20, s21
	s_mul_i32 s0, s21, s19
	v_mad_u32 v0, s20, s19, v0
	s_branch .LBB6_4
.LBB6_2:                                ;   in Loop: Header=BB6_4 Depth=1
	s_wait_xcnt 0x0
	s_or_b32 exec_lo, exec_lo, s19
	s_wait_loadcnt 0x0
	v_readfirstlane_b32 s19, v7
	v_mov_b64_e32 v[8:9], s[14:15]
	s_delay_alu instid0(VALU_DEP_2) | instskip(NEXT) | instid1(VALU_DEP_1)
	v_add_nc_u32_e32 v1, s19, v1
	v_mul_hi_u32 v7, 0xcccccccd, v1
	s_delay_alu instid0(VALU_DEP_1) | instskip(NEXT) | instid1(VALU_DEP_1)
	v_lshrrev_b32_e32 v7, 3, v7
	v_mul_lo_u32 v7, v7, 10
	s_delay_alu instid0(VALU_DEP_1)
	v_sub_nc_u32_e32 v1, v1, v7
	s_clause 0x3
	global_store_b64 v1, v[4:5], s[6:7] scale_offset
	global_store_b64 v1, v[8:9], s[8:9] scale_offset
	;; [unrolled: 1-line block ×4, first 2 shown]
.LBB6_3:                                ;   in Loop: Header=BB6_4 Depth=1
	s_wait_xcnt 0x0
	s_or_b32 exec_lo, exec_lo, s1
	v_ashrrev_i32_e32 v1, 31, v0
	s_delay_alu instid0(VALU_DEP_1) | instskip(SKIP_3) | instid1(SALU_CYCLE_1)
	v_cmp_le_u64_e32 vcc_lo, s[2:3], v[0:1]
	v_mov_b64_e32 v[2:3], v[0:1]
	v_add_nc_u32_e32 v0, s0, v0
	s_or_b32 s18, vcc_lo, s18
	s_and_not1_b32 exec_lo, exec_lo, s18
	s_cbranch_execz .LBB6_7
.LBB6_4:                                ; =>This Inner Loop Header: Depth=1
	s_delay_alu instid0(VALU_DEP_2)
	v_lshl_add_u64 v[4:5], v[2:3], 3, s[12:13]
	s_mov_b32 s1, exec_lo
	global_load_b64 v[2:3], v[4:5], off
	s_wait_loadcnt 0x0
	s_wait_xcnt 0x0
	v_cmpx_ne_u64_e64 s[14:15], v[2:3]
	s_cbranch_execz .LBB6_3
; %bb.5:                                ;   in Loop: Header=BB6_4 Depth=1
	s_mov_b32 s20, exec_lo
	s_mov_b32 s19, exec_lo
	v_mbcnt_lo_u32_b32 v1, s20, 0
                                        ; implicit-def: $vgpr7
	s_delay_alu instid0(VALU_DEP_1)
	v_cmpx_eq_u32_e32 0, v1
	s_cbranch_execz .LBB6_2
; %bb.6:                                ;   in Loop: Header=BB6_4 Depth=1
	s_bcnt1_i32_b32 s20, s20
	s_delay_alu instid0(SALU_CYCLE_1)
	v_mov_b32_e32 v7, s20
	global_atomic_add_u32 v7, v6, v7, s[4:5] th:TH_ATOMIC_RETURN scope:SCOPE_DEV
	s_branch .LBB6_2
.LBB6_7:
	s_endpgm
	.section	.rodata,"a",@progbits
	.p2align	6, 0x0
	.amdhsa_kernel _Z11kernel_readPKcmmPjPmS2_S2_S2_
		.amdhsa_group_segment_fixed_size 0
		.amdhsa_private_segment_fixed_size 0
		.amdhsa_kernarg_size 320
		.amdhsa_user_sgpr_count 2
		.amdhsa_user_sgpr_dispatch_ptr 0
		.amdhsa_user_sgpr_queue_ptr 0
		.amdhsa_user_sgpr_kernarg_segment_ptr 1
		.amdhsa_user_sgpr_dispatch_id 0
		.amdhsa_user_sgpr_kernarg_preload_length 0
		.amdhsa_user_sgpr_kernarg_preload_offset 0
		.amdhsa_user_sgpr_private_segment_size 0
		.amdhsa_wavefront_size32 1
		.amdhsa_uses_dynamic_stack 0
		.amdhsa_enable_private_segment 0
		.amdhsa_system_sgpr_workgroup_id_x 1
		.amdhsa_system_sgpr_workgroup_id_y 0
		.amdhsa_system_sgpr_workgroup_id_z 0
		.amdhsa_system_sgpr_workgroup_info 0
		.amdhsa_system_vgpr_workitem_id 0
		.amdhsa_next_free_vgpr 10
		.amdhsa_next_free_sgpr 24
		.amdhsa_named_barrier_count 0
		.amdhsa_reserve_vcc 1
		.amdhsa_float_round_mode_32 0
		.amdhsa_float_round_mode_16_64 0
		.amdhsa_float_denorm_mode_32 3
		.amdhsa_float_denorm_mode_16_64 3
		.amdhsa_fp16_overflow 0
		.amdhsa_memory_ordered 1
		.amdhsa_forward_progress 1
		.amdhsa_inst_pref_size 4
		.amdhsa_round_robin_scheduling 0
		.amdhsa_exception_fp_ieee_invalid_op 0
		.amdhsa_exception_fp_denorm_src 0
		.amdhsa_exception_fp_ieee_div_zero 0
		.amdhsa_exception_fp_ieee_overflow 0
		.amdhsa_exception_fp_ieee_underflow 0
		.amdhsa_exception_fp_ieee_inexact 0
		.amdhsa_exception_int_div_zero 0
	.end_amdhsa_kernel
	.text
.Lfunc_end6:
	.size	_Z11kernel_readPKcmmPjPmS2_S2_S2_, .Lfunc_end6-_Z11kernel_readPKcmmPjPmS2_S2_S2_
                                        ; -- End function
	.set _Z11kernel_readPKcmmPjPmS2_S2_S2_.num_vgpr, 10
	.set _Z11kernel_readPKcmmPjPmS2_S2_S2_.num_agpr, 0
	.set _Z11kernel_readPKcmmPjPmS2_S2_S2_.numbered_sgpr, 24
	.set _Z11kernel_readPKcmmPjPmS2_S2_S2_.num_named_barrier, 0
	.set _Z11kernel_readPKcmmPjPmS2_S2_S2_.private_seg_size, 0
	.set _Z11kernel_readPKcmmPjPmS2_S2_S2_.uses_vcc, 1
	.set _Z11kernel_readPKcmmPjPmS2_S2_S2_.uses_flat_scratch, 0
	.set _Z11kernel_readPKcmmPjPmS2_S2_S2_.has_dyn_sized_stack, 0
	.set _Z11kernel_readPKcmmPjPmS2_S2_S2_.has_recursion, 0
	.set _Z11kernel_readPKcmmPjPmS2_S2_S2_.has_indirect_call, 0
	.section	.AMDGPU.csdata,"",@progbits
; Kernel info:
; codeLenInByte = 440
; TotalNumSgprs: 26
; NumVgprs: 10
; ScratchSize: 0
; MemoryBound: 0
; FloatMode: 240
; IeeeMode: 1
; LDSByteSize: 0 bytes/workgroup (compile time only)
; SGPRBlocks: 0
; VGPRBlocks: 0
; NumSGPRsForWavesPerEU: 26
; NumVGPRsForWavesPerEU: 10
; NamedBarCnt: 0
; Occupancy: 16
; WaveLimiterHint : 0
; COMPUTE_PGM_RSRC2:SCRATCH_EN: 0
; COMPUTE_PGM_RSRC2:USER_SGPR: 2
; COMPUTE_PGM_RSRC2:TRAP_HANDLER: 0
; COMPUTE_PGM_RSRC2:TGID_X_EN: 1
; COMPUTE_PGM_RSRC2:TGID_Y_EN: 0
; COMPUTE_PGM_RSRC2:TGID_Z_EN: 0
; COMPUTE_PGM_RSRC2:TIDIG_COMP_CNT: 0
	.text
	.protected	_Z12kernel5_initPcm     ; -- Begin function _Z12kernel5_initPcm
	.globl	_Z12kernel5_initPcm
	.p2align	8
	.type	_Z12kernel5_initPcm,@function
_Z12kernel5_initPcm:                    ; @_Z12kernel5_initPcm
; %bb.0:
	s_clause 0x1
	s_load_b32 s2, s[0:1], 0x1c
	s_load_b128 s[4:7], s[0:1], 0x0
	s_bfe_u32 s3, ttmp6, 0x4000c
	s_and_b32 s8, ttmp6, 15
	s_add_co_i32 s3, s3, 1
	s_getreg_b32 s9, hwreg(HW_REG_IB_STS2, 6, 4)
	s_mul_i32 s3, ttmp9, s3
	s_delay_alu instid0(SALU_CYCLE_1)
	s_add_co_i32 s8, s8, s3
	s_cmp_eq_u32 s9, 0
	s_cselect_b32 s9, ttmp9, s8
	s_wait_kmcnt 0x0
	s_and_b32 s8, s2, 0xffff
	s_lshr_b64 s[2:3], s[6:7], 6
	v_mad_u32 v6, s9, s8, v0
	s_mov_b32 s6, 0
	s_mov_b32 s7, exec_lo
	s_delay_alu instid0(VALU_DEP_1) | instskip(NEXT) | instid1(VALU_DEP_1)
	v_ashrrev_i32_e32 v7, 31, v6
	v_cmpx_gt_u64_e64 s[2:3], v[6:7]
	s_cbranch_execz .LBB7_3
; %bb.1:
	s_add_nc_u64 s[0:1], s[0:1], 16
	s_load_b32 s0, s[0:1], 0x0
	s_wait_kmcnt 0x0
	s_add_co_i32 s9, s9, s0
	s_mul_i32 s0, s0, s8
	v_mad_u32 v4, s9, s8, v0
	v_lshlrev_b32_e64 v0, v6, 1
	s_ashr_i32 s1, s0, 31
	s_lshl_b32 s7, s0, 4
	v_lshlrev_b32_e32 v6, 4, v6
	s_delay_alu instid0(VALU_DEP_2) | instskip(NEXT) | instid1(VALU_DEP_4)
	v_not_b32_e32 v2, v0
	v_dual_mov_b32 v1, v0 :: v_dual_ashrrev_i32 v5, 31, v4
	s_delay_alu instid0(VALU_DEP_2) | instskip(NEXT) | instid1(VALU_DEP_2)
	v_mov_b32_e32 v3, v2
	v_sub_nc_u64_e64 v[4:5], v[4:5], s[0:1]
.LBB7_2:                                ; =>This Inner Loop Header: Depth=1
	s_delay_alu instid0(VALU_DEP_1) | instskip(SKIP_1) | instid1(VALU_DEP_1)
	v_add_nc_u64_e32 v[4:5], s[0:1], v[4:5]
	v_ashrrev_i32_e32 v7, 31, v6
	v_lshl_add_u64 v[8:9], v[6:7], 2, s[4:5]
	s_delay_alu instid0(VALU_DEP_3)
	v_cmp_le_u64_e32 vcc_lo, s[2:3], v[4:5]
	v_add_nc_u32_e32 v6, s7, v6
	s_clause 0x3
	global_store_b128 v[8:9], v[0:3], off
	global_store_b128 v[8:9], v[0:3], off offset:16
	global_store_b128 v[8:9], v[0:3], off offset:32
	global_store_b128 v[8:9], v[0:3], off offset:48
	s_or_b32 s6, vcc_lo, s6
	s_wait_xcnt 0x0
	s_and_not1_b32 exec_lo, exec_lo, s6
	s_cbranch_execnz .LBB7_2
.LBB7_3:
	s_endpgm
	.section	.rodata,"a",@progbits
	.p2align	6, 0x0
	.amdhsa_kernel _Z12kernel5_initPcm
		.amdhsa_group_segment_fixed_size 0
		.amdhsa_private_segment_fixed_size 0
		.amdhsa_kernarg_size 272
		.amdhsa_user_sgpr_count 2
		.amdhsa_user_sgpr_dispatch_ptr 0
		.amdhsa_user_sgpr_queue_ptr 0
		.amdhsa_user_sgpr_kernarg_segment_ptr 1
		.amdhsa_user_sgpr_dispatch_id 0
		.amdhsa_user_sgpr_kernarg_preload_length 0
		.amdhsa_user_sgpr_kernarg_preload_offset 0
		.amdhsa_user_sgpr_private_segment_size 0
		.amdhsa_wavefront_size32 1
		.amdhsa_uses_dynamic_stack 0
		.amdhsa_enable_private_segment 0
		.amdhsa_system_sgpr_workgroup_id_x 1
		.amdhsa_system_sgpr_workgroup_id_y 0
		.amdhsa_system_sgpr_workgroup_id_z 0
		.amdhsa_system_sgpr_workgroup_info 0
		.amdhsa_system_vgpr_workitem_id 0
		.amdhsa_next_free_vgpr 10
		.amdhsa_next_free_sgpr 10
		.amdhsa_named_barrier_count 0
		.amdhsa_reserve_vcc 1
		.amdhsa_float_round_mode_32 0
		.amdhsa_float_round_mode_16_64 0
		.amdhsa_float_denorm_mode_32 3
		.amdhsa_float_denorm_mode_16_64 3
		.amdhsa_fp16_overflow 0
		.amdhsa_memory_ordered 1
		.amdhsa_forward_progress 1
		.amdhsa_inst_pref_size 3
		.amdhsa_round_robin_scheduling 0
		.amdhsa_exception_fp_ieee_invalid_op 0
		.amdhsa_exception_fp_denorm_src 0
		.amdhsa_exception_fp_ieee_div_zero 0
		.amdhsa_exception_fp_ieee_overflow 0
		.amdhsa_exception_fp_ieee_underflow 0
		.amdhsa_exception_fp_ieee_inexact 0
		.amdhsa_exception_int_div_zero 0
	.end_amdhsa_kernel
	.text
.Lfunc_end7:
	.size	_Z12kernel5_initPcm, .Lfunc_end7-_Z12kernel5_initPcm
                                        ; -- End function
	.set _Z12kernel5_initPcm.num_vgpr, 10
	.set _Z12kernel5_initPcm.num_agpr, 0
	.set _Z12kernel5_initPcm.numbered_sgpr, 10
	.set _Z12kernel5_initPcm.num_named_barrier, 0
	.set _Z12kernel5_initPcm.private_seg_size, 0
	.set _Z12kernel5_initPcm.uses_vcc, 1
	.set _Z12kernel5_initPcm.uses_flat_scratch, 0
	.set _Z12kernel5_initPcm.has_dyn_sized_stack, 0
	.set _Z12kernel5_initPcm.has_recursion, 0
	.set _Z12kernel5_initPcm.has_indirect_call, 0
	.section	.AMDGPU.csdata,"",@progbits
; Kernel info:
; codeLenInByte = 304
; TotalNumSgprs: 12
; NumVgprs: 10
; ScratchSize: 0
; MemoryBound: 0
; FloatMode: 240
; IeeeMode: 1
; LDSByteSize: 0 bytes/workgroup (compile time only)
; SGPRBlocks: 0
; VGPRBlocks: 0
; NumSGPRsForWavesPerEU: 12
; NumVGPRsForWavesPerEU: 10
; NamedBarCnt: 0
; Occupancy: 16
; WaveLimiterHint : 0
; COMPUTE_PGM_RSRC2:SCRATCH_EN: 0
; COMPUTE_PGM_RSRC2:USER_SGPR: 2
; COMPUTE_PGM_RSRC2:TRAP_HANDLER: 0
; COMPUTE_PGM_RSRC2:TGID_X_EN: 1
; COMPUTE_PGM_RSRC2:TGID_Y_EN: 0
; COMPUTE_PGM_RSRC2:TGID_Z_EN: 0
; COMPUTE_PGM_RSRC2:TIDIG_COMP_CNT: 0
	.text
	.protected	_Z12kernel5_movePcm     ; -- Begin function _Z12kernel5_movePcm
	.globl	_Z12kernel5_movePcm
	.p2align	8
	.type	_Z12kernel5_movePcm,@function
_Z12kernel5_movePcm:                    ; @_Z12kernel5_movePcm
; %bb.0:
	s_clause 0x1
	s_load_b32 s2, s[0:1], 0x1c
	s_load_b128 s[4:7], s[0:1], 0x0
	s_bfe_u32 s3, ttmp6, 0x4000c
	s_and_b32 s9, ttmp6, 15
	s_add_co_i32 s3, s3, 1
	s_getreg_b32 s10, hwreg(HW_REG_IB_STS2, 6, 4)
	s_mul_i32 s3, ttmp9, s3
	s_delay_alu instid0(SALU_CYCLE_1) | instskip(SKIP_4) | instid1(SALU_CYCLE_1)
	s_add_co_i32 s9, s9, s3
	s_wait_kmcnt 0x0
	s_and_b32 s8, s2, 0xffff
	s_cmp_eq_u32 s10, 0
	s_cselect_b32 s2, ttmp9, s9
	v_mad_u32 v0, s2, s8, v0
	s_lshr_b64 s[2:3], s[6:7], 20
	s_mov_b32 s6, 0
	s_mov_b32 s7, exec_lo
	s_delay_alu instid0(VALU_DEP_1) | instskip(NEXT) | instid1(VALU_DEP_1)
	v_ashrrev_i32_e32 v1, 31, v0
	v_cmpx_gt_u64_e64 s[2:3], v[0:1]
	s_cbranch_execz .LBB8_7
; %bb.1:
	s_add_nc_u64 s[0:1], s[0:1], 16
	v_lshlrev_b32_e32 v2, 20, v0
	s_load_b32 s7, s[0:1], 0x0
	s_wait_kmcnt 0x0
	s_mul_i32 s7, s7, s8
	s_delay_alu instid0(SALU_CYCLE_1)
	s_lshl_b32 s8, s7, 20
.LBB8_2:                                ; =>This Loop Header: Depth=1
                                        ;     Child Loop BB8_3 Depth 2
                                        ;     Child Loop BB8_5 Depth 2
	v_ashrrev_i32_e32 v3, 31, v2
	s_mov_b64 s[0:1], 0
	s_delay_alu instid0(VALU_DEP_1)
	v_add_nc_u64_e32 v[4:5], s[4:5], v[2:3]
.LBB8_3:                                ;   Parent Loop BB8_2 Depth=1
                                        ; =>  This Inner Loop Header: Depth=2
	s_wait_xcnt 0x0
	s_delay_alu instid0(VALU_DEP_1)
	v_add_nc_u64_e32 v[38:39], s[0:1], v[4:5]
	s_add_nc_u64 s[0:1], s[0:1], 0x80
	s_clause 0x7
	global_load_b128 v[6:9], v[38:39], off
	global_load_b128 v[10:13], v[38:39], off offset:16
	global_load_b128 v[14:17], v[38:39], off offset:32
	;; [unrolled: 1-line block ×7, first 2 shown]
	s_cmp_lg_u32 s0, 0x80000
	s_wait_loadcnt 0x7
	global_store_b128 v[38:39], v[6:9], off offset:524288
	s_wait_loadcnt 0x6
	global_store_b128 v[38:39], v[10:13], off offset:524304
	;; [unrolled: 2-line block ×8, first 2 shown]
	s_cbranch_scc1 .LBB8_3
; %bb.4:                                ;   in Loop: Header=BB8_2 Depth=1
	s_mov_b64 s[0:1], 0
.LBB8_5:                                ;   Parent Loop BB8_2 Depth=1
                                        ; =>  This Inner Loop Header: Depth=2
	s_wait_xcnt 0x0
	v_add_nc_u64_e32 v[30:31], s[0:1], v[4:5]
	s_add_nc_u64 s[0:1], s[0:1], 0x60
	s_clause 0x5
	global_load_b128 v[6:9], v[30:31], off offset:524288
	global_load_b128 v[10:13], v[30:31], off offset:524304
	;; [unrolled: 1-line block ×6, first 2 shown]
	s_cmp_lg_u32 s0, 0x7ffe0
	s_wait_loadcnt 0x5
	global_store_b128 v[30:31], v[6:9], off offset:32
	s_wait_loadcnt 0x4
	global_store_b128 v[30:31], v[10:13], off offset:48
	;; [unrolled: 2-line block ×6, first 2 shown]
	s_cbranch_scc1 .LBB8_5
; %bb.6:                                ;   in Loop: Header=BB8_2 Depth=1
	v_dual_lshlrev_b32 v3, 20, v0 :: v_dual_add_nc_u32 v0, s7, v0
	s_clause 0x1
	global_load_b128 v[4:7], v3, s[4:5] offset:1048544
	global_load_b128 v[8:11], v3, s[4:5] offset:1048560
	v_dual_ashrrev_i32 v1, 31, v0 :: v_dual_add_nc_u32 v2, s8, v2
	s_wait_loadcnt 0x1
	global_store_b128 v3, v[4:7], s[4:5]
	s_wait_loadcnt 0x0
	global_store_b128 v3, v[8:11], s[4:5] offset:16
	v_cmp_le_u64_e32 vcc_lo, s[2:3], v[0:1]
	s_or_b32 s6, vcc_lo, s6
	s_wait_xcnt 0x0
	s_and_not1_b32 exec_lo, exec_lo, s6
	s_cbranch_execnz .LBB8_2
.LBB8_7:
	s_endpgm
	.section	.rodata,"a",@progbits
	.p2align	6, 0x0
	.amdhsa_kernel _Z12kernel5_movePcm
		.amdhsa_group_segment_fixed_size 0
		.amdhsa_private_segment_fixed_size 0
		.amdhsa_kernarg_size 272
		.amdhsa_user_sgpr_count 2
		.amdhsa_user_sgpr_dispatch_ptr 0
		.amdhsa_user_sgpr_queue_ptr 0
		.amdhsa_user_sgpr_kernarg_segment_ptr 1
		.amdhsa_user_sgpr_dispatch_id 0
		.amdhsa_user_sgpr_kernarg_preload_length 0
		.amdhsa_user_sgpr_kernarg_preload_offset 0
		.amdhsa_user_sgpr_private_segment_size 0
		.amdhsa_wavefront_size32 1
		.amdhsa_uses_dynamic_stack 0
		.amdhsa_enable_private_segment 0
		.amdhsa_system_sgpr_workgroup_id_x 1
		.amdhsa_system_sgpr_workgroup_id_y 0
		.amdhsa_system_sgpr_workgroup_id_z 0
		.amdhsa_system_sgpr_workgroup_info 0
		.amdhsa_system_vgpr_workitem_id 0
		.amdhsa_next_free_vgpr 40
		.amdhsa_next_free_sgpr 11
		.amdhsa_named_barrier_count 0
		.amdhsa_reserve_vcc 1
		.amdhsa_float_round_mode_32 0
		.amdhsa_float_round_mode_16_64 0
		.amdhsa_float_denorm_mode_32 3
		.amdhsa_float_denorm_mode_16_64 3
		.amdhsa_fp16_overflow 0
		.amdhsa_memory_ordered 1
		.amdhsa_forward_progress 1
		.amdhsa_inst_pref_size 6
		.amdhsa_round_robin_scheduling 0
		.amdhsa_exception_fp_ieee_invalid_op 0
		.amdhsa_exception_fp_denorm_src 0
		.amdhsa_exception_fp_ieee_div_zero 0
		.amdhsa_exception_fp_ieee_overflow 0
		.amdhsa_exception_fp_ieee_underflow 0
		.amdhsa_exception_fp_ieee_inexact 0
		.amdhsa_exception_int_div_zero 0
	.end_amdhsa_kernel
	.text
.Lfunc_end8:
	.size	_Z12kernel5_movePcm, .Lfunc_end8-_Z12kernel5_movePcm
                                        ; -- End function
	.set _Z12kernel5_movePcm.num_vgpr, 40
	.set _Z12kernel5_movePcm.num_agpr, 0
	.set _Z12kernel5_movePcm.numbered_sgpr, 11
	.set _Z12kernel5_movePcm.num_named_barrier, 0
	.set _Z12kernel5_movePcm.private_seg_size, 0
	.set _Z12kernel5_movePcm.uses_vcc, 1
	.set _Z12kernel5_movePcm.uses_flat_scratch, 0
	.set _Z12kernel5_movePcm.has_dyn_sized_stack, 0
	.set _Z12kernel5_movePcm.has_recursion, 0
	.set _Z12kernel5_movePcm.has_indirect_call, 0
	.section	.AMDGPU.csdata,"",@progbits
; Kernel info:
; codeLenInByte = 732
; TotalNumSgprs: 13
; NumVgprs: 40
; ScratchSize: 0
; MemoryBound: 0
; FloatMode: 240
; IeeeMode: 1
; LDSByteSize: 0 bytes/workgroup (compile time only)
; SGPRBlocks: 0
; VGPRBlocks: 2
; NumSGPRsForWavesPerEU: 13
; NumVGPRsForWavesPerEU: 40
; NamedBarCnt: 0
; Occupancy: 16
; WaveLimiterHint : 1
; COMPUTE_PGM_RSRC2:SCRATCH_EN: 0
; COMPUTE_PGM_RSRC2:USER_SGPR: 2
; COMPUTE_PGM_RSRC2:TRAP_HANDLER: 0
; COMPUTE_PGM_RSRC2:TGID_X_EN: 1
; COMPUTE_PGM_RSRC2:TGID_Y_EN: 0
; COMPUTE_PGM_RSRC2:TGID_Z_EN: 0
; COMPUTE_PGM_RSRC2:TIDIG_COMP_CNT: 0
	.text
	.protected	_Z13kernel5_checkPKcmPjPmS2_S2_S2_ ; -- Begin function _Z13kernel5_checkPKcmPjPmS2_S2_S2_
	.globl	_Z13kernel5_checkPKcmPjPmS2_S2_S2_
	.p2align	8
	.type	_Z13kernel5_checkPKcmPjPmS2_S2_S2_,@function
_Z13kernel5_checkPKcmPjPmS2_S2_S2_:     ; @_Z13kernel5_checkPKcmPjPmS2_S2_S2_
; %bb.0:
	s_clause 0x1
	s_load_b32 s4, s[0:1], 0x44
	s_load_b64 s[2:3], s[0:1], 0x8
	s_bfe_u32 s5, ttmp6, 0x4000c
	s_and_b32 s6, ttmp6, 15
	s_add_co_i32 s5, s5, 1
	s_getreg_b32 s7, hwreg(HW_REG_IB_STS2, 6, 4)
	s_mul_i32 s5, ttmp9, s5
	s_mov_b32 s16, 0
	s_add_co_i32 s6, s6, s5
	s_cmp_eq_u32 s7, 0
	s_cselect_b32 s18, ttmp9, s6
	s_wait_kmcnt 0x0
	s_and_b32 s17, s4, 0xffff
	s_lshr_b64 s[2:3], s[2:3], 3
	v_mad_u32 v2, s18, s17, v0
	s_mov_b32 s4, exec_lo
	s_delay_alu instid0(VALU_DEP_1) | instskip(NEXT) | instid1(VALU_DEP_1)
	v_ashrrev_i32_e32 v3, 31, v2
	v_cmpx_gt_u64_e64 s[2:3], v[2:3]
	s_cbranch_execz .LBB9_7
; %bb.1:
	s_add_nc_u64 s[20:21], s[0:1], 56
	v_dual_mov_b32 v5, 0 :: v_dual_lshlrev_b32 v2, 1, v2
	s_load_b32 s19, s[20:21], 0x0
	s_clause 0x2
	s_load_b64 s[12:13], s[0:1], 0x0
	s_load_b256 s[4:11], s[0:1], 0x10
	s_load_b64 s[14:15], s[0:1], 0x30
	s_wait_kmcnt 0x0
	s_add_co_i32 s18, s18, s19
	s_mul_i32 s0, s19, s17
	v_mad_u32 v0, s18, s17, v0
	s_lshl_b32 s1, s0, 1
	s_branch .LBB9_4
.LBB9_2:                                ;   in Loop: Header=BB9_4 Depth=1
	s_wait_xcnt 0x0
	s_or_b32 exec_lo, exec_lo, s18
	s_wait_loadcnt 0x0
	v_readfirstlane_b32 s18, v3
	v_dual_mov_b32 v4, v7 :: v_dual_mov_b32 v7, v5
	s_delay_alu instid0(VALU_DEP_2) | instskip(NEXT) | instid1(VALU_DEP_1)
	v_add_nc_u32_e32 v1, s18, v1
	v_mul_hi_u32 v3, 0xcccccccd, v1
	s_delay_alu instid0(VALU_DEP_1) | instskip(NEXT) | instid1(VALU_DEP_1)
	v_lshrrev_b32_e32 v3, 3, v3
	v_mul_lo_u32 v3, v3, 10
	s_delay_alu instid0(VALU_DEP_1)
	v_sub_nc_u32_e32 v1, v1, v3
	s_clause 0x3
	global_store_b64 v1, v[8:9], s[6:7] scale_offset
	global_store_b64 v1, v[4:5], s[8:9] scale_offset
	global_store_b64 v1, v[6:7], s[10:11] scale_offset
	global_store_b64 v1, v[6:7], s[14:15] scale_offset
.LBB9_3:                                ;   in Loop: Header=BB9_4 Depth=1
	s_wait_xcnt 0x0
	s_or_b32 exec_lo, exec_lo, s17
	v_dual_ashrrev_i32 v1, 31, v0 :: v_dual_add_nc_u32 v2, s1, v2
	s_delay_alu instid0(VALU_DEP_1) | instskip(SKIP_2) | instid1(SALU_CYCLE_1)
	v_cmp_le_u64_e32 vcc_lo, s[2:3], v[0:1]
	v_add_nc_u32_e32 v0, s0, v0
	s_or_b32 s16, vcc_lo, s16
	s_and_not1_b32 exec_lo, exec_lo, s16
	s_cbranch_execz .LBB9_7
.LBB9_4:                                ; =>This Inner Loop Header: Depth=1
	v_ashrrev_i32_e32 v3, 31, v2
	s_mov_b32 s17, exec_lo
	s_delay_alu instid0(VALU_DEP_1)
	v_lshl_add_u64 v[8:9], v[2:3], 2, s[12:13]
	global_load_b64 v[6:7], v[8:9], off
	s_wait_loadcnt 0x0
	s_wait_xcnt 0x0
	v_cmpx_ne_u32_e64 v6, v7
	s_cbranch_execz .LBB9_3
; %bb.5:                                ;   in Loop: Header=BB9_4 Depth=1
	s_mov_b32 s19, exec_lo
	s_mov_b32 s18, exec_lo
	v_mbcnt_lo_u32_b32 v1, s19, 0
                                        ; implicit-def: $vgpr3
	s_delay_alu instid0(VALU_DEP_1)
	v_cmpx_eq_u32_e32 0, v1
	s_cbranch_execz .LBB9_2
; %bb.6:                                ;   in Loop: Header=BB9_4 Depth=1
	s_bcnt1_i32_b32 s19, s19
	s_delay_alu instid0(SALU_CYCLE_1)
	v_mov_b32_e32 v3, s19
	global_atomic_add_u32 v3, v5, v3, s[4:5] th:TH_ATOMIC_RETURN scope:SCOPE_DEV
	s_branch .LBB9_2
.LBB9_7:
	s_endpgm
	.section	.rodata,"a",@progbits
	.p2align	6, 0x0
	.amdhsa_kernel _Z13kernel5_checkPKcmPjPmS2_S2_S2_
		.amdhsa_group_segment_fixed_size 0
		.amdhsa_private_segment_fixed_size 0
		.amdhsa_kernarg_size 312
		.amdhsa_user_sgpr_count 2
		.amdhsa_user_sgpr_dispatch_ptr 0
		.amdhsa_user_sgpr_queue_ptr 0
		.amdhsa_user_sgpr_kernarg_segment_ptr 1
		.amdhsa_user_sgpr_dispatch_id 0
		.amdhsa_user_sgpr_kernarg_preload_length 0
		.amdhsa_user_sgpr_kernarg_preload_offset 0
		.amdhsa_user_sgpr_private_segment_size 0
		.amdhsa_wavefront_size32 1
		.amdhsa_uses_dynamic_stack 0
		.amdhsa_enable_private_segment 0
		.amdhsa_system_sgpr_workgroup_id_x 1
		.amdhsa_system_sgpr_workgroup_id_y 0
		.amdhsa_system_sgpr_workgroup_id_z 0
		.amdhsa_system_sgpr_workgroup_info 0
		.amdhsa_system_vgpr_workitem_id 0
		.amdhsa_next_free_vgpr 10
		.amdhsa_next_free_sgpr 22
		.amdhsa_named_barrier_count 0
		.amdhsa_reserve_vcc 1
		.amdhsa_float_round_mode_32 0
		.amdhsa_float_round_mode_16_64 0
		.amdhsa_float_denorm_mode_32 3
		.amdhsa_float_denorm_mode_16_64 3
		.amdhsa_fp16_overflow 0
		.amdhsa_memory_ordered 1
		.amdhsa_forward_progress 1
		.amdhsa_inst_pref_size 4
		.amdhsa_round_robin_scheduling 0
		.amdhsa_exception_fp_ieee_invalid_op 0
		.amdhsa_exception_fp_denorm_src 0
		.amdhsa_exception_fp_ieee_div_zero 0
		.amdhsa_exception_fp_ieee_overflow 0
		.amdhsa_exception_fp_ieee_underflow 0
		.amdhsa_exception_fp_ieee_inexact 0
		.amdhsa_exception_int_div_zero 0
	.end_amdhsa_kernel
	.text
.Lfunc_end9:
	.size	_Z13kernel5_checkPKcmPjPmS2_S2_S2_, .Lfunc_end9-_Z13kernel5_checkPKcmPjPmS2_S2_S2_
                                        ; -- End function
	.set _Z13kernel5_checkPKcmPjPmS2_S2_S2_.num_vgpr, 10
	.set _Z13kernel5_checkPKcmPjPmS2_S2_S2_.num_agpr, 0
	.set _Z13kernel5_checkPKcmPjPmS2_S2_S2_.numbered_sgpr, 22
	.set _Z13kernel5_checkPKcmPjPmS2_S2_S2_.num_named_barrier, 0
	.set _Z13kernel5_checkPKcmPjPmS2_S2_S2_.private_seg_size, 0
	.set _Z13kernel5_checkPKcmPjPmS2_S2_S2_.uses_vcc, 1
	.set _Z13kernel5_checkPKcmPjPmS2_S2_S2_.uses_flat_scratch, 0
	.set _Z13kernel5_checkPKcmPjPmS2_S2_S2_.has_dyn_sized_stack, 0
	.set _Z13kernel5_checkPKcmPjPmS2_S2_S2_.has_recursion, 0
	.set _Z13kernel5_checkPKcmPjPmS2_S2_S2_.has_indirect_call, 0
	.section	.AMDGPU.csdata,"",@progbits
; Kernel info:
; codeLenInByte = 460
; TotalNumSgprs: 24
; NumVgprs: 10
; ScratchSize: 0
; MemoryBound: 0
; FloatMode: 240
; IeeeMode: 1
; LDSByteSize: 0 bytes/workgroup (compile time only)
; SGPRBlocks: 0
; VGPRBlocks: 0
; NumSGPRsForWavesPerEU: 24
; NumVGPRsForWavesPerEU: 10
; NamedBarCnt: 0
; Occupancy: 16
; WaveLimiterHint : 0
; COMPUTE_PGM_RSRC2:SCRATCH_EN: 0
; COMPUTE_PGM_RSRC2:USER_SGPR: 2
; COMPUTE_PGM_RSRC2:TRAP_HANDLER: 0
; COMPUTE_PGM_RSRC2:TGID_X_EN: 1
; COMPUTE_PGM_RSRC2:TGID_Y_EN: 0
; COMPUTE_PGM_RSRC2:TGID_Z_EN: 0
; COMPUTE_PGM_RSRC2:TIDIG_COMP_CNT: 0
	.text
	.p2alignl 7, 3214868480
	.fill 96, 4, 3214868480
	.section	.AMDGPU.gpr_maximums,"",@progbits
	.set amdgpu.max_num_vgpr, 0
	.set amdgpu.max_num_agpr, 0
	.set amdgpu.max_num_sgpr, 0
	.text
	.type	__hip_cuid_2c1db1bdc5e92441,@object ; @__hip_cuid_2c1db1bdc5e92441
	.section	.bss,"aw",@nobits
	.globl	__hip_cuid_2c1db1bdc5e92441
__hip_cuid_2c1db1bdc5e92441:
	.byte	0                               ; 0x0
	.size	__hip_cuid_2c1db1bdc5e92441, 1

	.ident	"AMD clang version 22.0.0git (https://github.com/RadeonOpenCompute/llvm-project roc-7.2.4 26084 f58b06dce1f9c15707c5f808fd002e18c2accf7e)"
	.section	".note.GNU-stack","",@progbits
	.addrsig
	.addrsig_sym __hip_cuid_2c1db1bdc5e92441
	.amdgpu_metadata
---
amdhsa.kernels:
  - .args:
      - .address_space:  global
        .offset:         0
        .size:           8
        .value_kind:     global_buffer
      - .offset:         8
        .size:           8
        .value_kind:     by_value
      - .offset:         16
        .size:           4
        .value_kind:     hidden_block_count_x
      - .offset:         20
        .size:           4
        .value_kind:     hidden_block_count_y
      - .offset:         24
        .size:           4
        .value_kind:     hidden_block_count_z
      - .offset:         28
        .size:           2
        .value_kind:     hidden_group_size_x
      - .offset:         30
        .size:           2
        .value_kind:     hidden_group_size_y
      - .offset:         32
        .size:           2
        .value_kind:     hidden_group_size_z
      - .offset:         34
        .size:           2
        .value_kind:     hidden_remainder_x
      - .offset:         36
        .size:           2
        .value_kind:     hidden_remainder_y
      - .offset:         38
        .size:           2
        .value_kind:     hidden_remainder_z
      - .offset:         56
        .size:           8
        .value_kind:     hidden_global_offset_x
      - .offset:         64
        .size:           8
        .value_kind:     hidden_global_offset_y
      - .offset:         72
        .size:           8
        .value_kind:     hidden_global_offset_z
      - .offset:         80
        .size:           2
        .value_kind:     hidden_grid_dims
    .group_segment_fixed_size: 0
    .kernarg_segment_align: 8
    .kernarg_segment_size: 272
    .language:       OpenCL C
    .language_version:
      - 2
      - 0
    .max_flat_workgroup_size: 1024
    .name:           _Z13kernel0_writePcm
    .private_segment_fixed_size: 0
    .sgpr_count:     23
    .sgpr_spill_count: 0
    .symbol:         _Z13kernel0_writePcm.kd
    .uniform_work_group_size: 1
    .uses_dynamic_stack: false
    .vgpr_count:     13
    .vgpr_spill_count: 0
    .wavefront_size: 32
  - .args:
      - .address_space:  global
        .offset:         0
        .size:           8
        .value_kind:     global_buffer
      - .offset:         8
        .size:           8
        .value_kind:     by_value
      - .address_space:  global
        .offset:         16
        .size:           8
        .value_kind:     global_buffer
      - .actual_access:  write_only
        .address_space:  global
        .offset:         24
        .size:           8
        .value_kind:     global_buffer
      - .actual_access:  write_only
        .address_space:  global
        .offset:         32
        .size:           8
        .value_kind:     global_buffer
      - .actual_access:  write_only
        .address_space:  global
        .offset:         40
        .size:           8
        .value_kind:     global_buffer
      - .actual_access:  write_only
        .address_space:  global
        .offset:         48
        .size:           8
        .value_kind:     global_buffer
      - .offset:         56
        .size:           4
        .value_kind:     hidden_block_count_x
      - .offset:         60
        .size:           4
        .value_kind:     hidden_block_count_y
      - .offset:         64
        .size:           4
        .value_kind:     hidden_block_count_z
      - .offset:         68
        .size:           2
        .value_kind:     hidden_group_size_x
      - .offset:         70
        .size:           2
        .value_kind:     hidden_group_size_y
      - .offset:         72
        .size:           2
        .value_kind:     hidden_group_size_z
      - .offset:         74
        .size:           2
        .value_kind:     hidden_remainder_x
      - .offset:         76
        .size:           2
        .value_kind:     hidden_remainder_y
      - .offset:         78
        .size:           2
        .value_kind:     hidden_remainder_z
      - .offset:         96
        .size:           8
        .value_kind:     hidden_global_offset_x
      - .offset:         104
        .size:           8
        .value_kind:     hidden_global_offset_y
      - .offset:         112
        .size:           8
        .value_kind:     hidden_global_offset_z
      - .offset:         120
        .size:           2
        .value_kind:     hidden_grid_dims
    .group_segment_fixed_size: 0
    .kernarg_segment_align: 8
    .kernarg_segment_size: 312
    .language:       OpenCL C
    .language_version:
      - 2
      - 0
    .max_flat_workgroup_size: 1024
    .name:           _Z12kernel0_readPKcmPjPmS2_S2_S2_
    .private_segment_fixed_size: 0
    .sgpr_count:     33
    .sgpr_spill_count: 0
    .symbol:         _Z12kernel0_readPKcmPjPmS2_S2_S2_.kd
    .uniform_work_group_size: 1
    .uses_dynamic_stack: false
    .vgpr_count:     16
    .vgpr_spill_count: 0
    .wavefront_size: 32
  - .args:
      - .address_space:  global
        .offset:         0
        .size:           8
        .value_kind:     global_buffer
      - .offset:         8
        .size:           8
        .value_kind:     by_value
      - .offset:         16
        .size:           4
        .value_kind:     hidden_block_count_x
      - .offset:         20
        .size:           4
        .value_kind:     hidden_block_count_y
      - .offset:         24
        .size:           4
        .value_kind:     hidden_block_count_z
      - .offset:         28
        .size:           2
        .value_kind:     hidden_group_size_x
      - .offset:         30
        .size:           2
        .value_kind:     hidden_group_size_y
      - .offset:         32
        .size:           2
        .value_kind:     hidden_group_size_z
      - .offset:         34
        .size:           2
        .value_kind:     hidden_remainder_x
      - .offset:         36
        .size:           2
        .value_kind:     hidden_remainder_y
      - .offset:         38
        .size:           2
        .value_kind:     hidden_remainder_z
      - .offset:         56
        .size:           8
        .value_kind:     hidden_global_offset_x
      - .offset:         64
        .size:           8
        .value_kind:     hidden_global_offset_y
      - .offset:         72
        .size:           8
        .value_kind:     hidden_global_offset_z
      - .offset:         80
        .size:           2
        .value_kind:     hidden_grid_dims
    .group_segment_fixed_size: 0
    .kernarg_segment_align: 8
    .kernarg_segment_size: 272
    .language:       OpenCL C
    .language_version:
      - 2
      - 0
    .max_flat_workgroup_size: 1024
    .name:           _Z13kernel1_writePcm
    .private_segment_fixed_size: 0
    .sgpr_count:     12
    .sgpr_spill_count: 0
    .symbol:         _Z13kernel1_writePcm.kd
    .uniform_work_group_size: 1
    .uses_dynamic_stack: false
    .vgpr_count:     6
    .vgpr_spill_count: 0
    .wavefront_size: 32
  - .args:
      - .address_space:  global
        .offset:         0
        .size:           8
        .value_kind:     global_buffer
      - .offset:         8
        .size:           8
        .value_kind:     by_value
      - .address_space:  global
        .offset:         16
        .size:           8
        .value_kind:     global_buffer
      - .actual_access:  write_only
        .address_space:  global
        .offset:         24
        .size:           8
        .value_kind:     global_buffer
      - .actual_access:  write_only
        .address_space:  global
        .offset:         32
        .size:           8
        .value_kind:     global_buffer
      - .actual_access:  write_only
        .address_space:  global
        .offset:         40
        .size:           8
        .value_kind:     global_buffer
      - .actual_access:  write_only
        .address_space:  global
        .offset:         48
        .size:           8
        .value_kind:     global_buffer
      - .offset:         56
        .size:           4
        .value_kind:     hidden_block_count_x
      - .offset:         60
        .size:           4
        .value_kind:     hidden_block_count_y
      - .offset:         64
        .size:           4
        .value_kind:     hidden_block_count_z
      - .offset:         68
        .size:           2
        .value_kind:     hidden_group_size_x
      - .offset:         70
        .size:           2
        .value_kind:     hidden_group_size_y
      - .offset:         72
        .size:           2
        .value_kind:     hidden_group_size_z
      - .offset:         74
        .size:           2
        .value_kind:     hidden_remainder_x
      - .offset:         76
        .size:           2
        .value_kind:     hidden_remainder_y
      - .offset:         78
        .size:           2
        .value_kind:     hidden_remainder_z
      - .offset:         96
        .size:           8
        .value_kind:     hidden_global_offset_x
      - .offset:         104
        .size:           8
        .value_kind:     hidden_global_offset_y
      - .offset:         112
        .size:           8
        .value_kind:     hidden_global_offset_z
      - .offset:         120
        .size:           2
        .value_kind:     hidden_grid_dims
    .group_segment_fixed_size: 0
    .kernarg_segment_align: 8
    .kernarg_segment_size: 312
    .language:       OpenCL C
    .language_version:
      - 2
      - 0
    .max_flat_workgroup_size: 1024
    .name:           _Z12kernel1_readPKcmPjPmS2_S2_S2_
    .private_segment_fixed_size: 0
    .sgpr_count:     24
    .sgpr_spill_count: 0
    .symbol:         _Z12kernel1_readPKcmPjPmS2_S2_S2_.kd
    .uniform_work_group_size: 1
    .uses_dynamic_stack: false
    .vgpr_count:     8
    .vgpr_spill_count: 0
    .wavefront_size: 32
  - .args:
      - .address_space:  global
        .offset:         0
        .size:           8
        .value_kind:     global_buffer
      - .offset:         8
        .size:           8
        .value_kind:     by_value
      - .offset:         16
        .size:           8
        .value_kind:     by_value
      - .offset:         24
        .size:           4
        .value_kind:     hidden_block_count_x
      - .offset:         28
        .size:           4
        .value_kind:     hidden_block_count_y
      - .offset:         32
        .size:           4
        .value_kind:     hidden_block_count_z
      - .offset:         36
        .size:           2
        .value_kind:     hidden_group_size_x
      - .offset:         38
        .size:           2
        .value_kind:     hidden_group_size_y
      - .offset:         40
        .size:           2
        .value_kind:     hidden_group_size_z
      - .offset:         42
        .size:           2
        .value_kind:     hidden_remainder_x
      - .offset:         44
        .size:           2
        .value_kind:     hidden_remainder_y
      - .offset:         46
        .size:           2
        .value_kind:     hidden_remainder_z
      - .offset:         64
        .size:           8
        .value_kind:     hidden_global_offset_x
      - .offset:         72
        .size:           8
        .value_kind:     hidden_global_offset_y
      - .offset:         80
        .size:           8
        .value_kind:     hidden_global_offset_z
      - .offset:         88
        .size:           2
        .value_kind:     hidden_grid_dims
    .group_segment_fixed_size: 0
    .kernarg_segment_align: 8
    .kernarg_segment_size: 280
    .language:       OpenCL C
    .language_version:
      - 2
      - 0
    .max_flat_workgroup_size: 1024
    .name:           _Z12kernel_writePcmm
    .private_segment_fixed_size: 0
    .sgpr_count:     16
    .sgpr_spill_count: 0
    .symbol:         _Z12kernel_writePcmm.kd
    .uniform_work_group_size: 1
    .uses_dynamic_stack: false
    .vgpr_count:     8
    .vgpr_spill_count: 0
    .wavefront_size: 32
  - .args:
      - .address_space:  global
        .offset:         0
        .size:           8
        .value_kind:     global_buffer
      - .offset:         8
        .size:           8
        .value_kind:     by_value
      - .offset:         16
        .size:           8
        .value_kind:     by_value
      - .offset:         24
        .size:           8
        .value_kind:     by_value
      - .address_space:  global
        .offset:         32
        .size:           8
        .value_kind:     global_buffer
      - .actual_access:  write_only
        .address_space:  global
        .offset:         40
        .size:           8
        .value_kind:     global_buffer
      - .actual_access:  write_only
        .address_space:  global
        .offset:         48
        .size:           8
        .value_kind:     global_buffer
      - .actual_access:  write_only
        .address_space:  global
        .offset:         56
        .size:           8
        .value_kind:     global_buffer
      - .actual_access:  write_only
        .address_space:  global
        .offset:         64
        .size:           8
        .value_kind:     global_buffer
      - .offset:         72
        .size:           4
        .value_kind:     hidden_block_count_x
      - .offset:         76
        .size:           4
        .value_kind:     hidden_block_count_y
      - .offset:         80
        .size:           4
        .value_kind:     hidden_block_count_z
      - .offset:         84
        .size:           2
        .value_kind:     hidden_group_size_x
      - .offset:         86
        .size:           2
        .value_kind:     hidden_group_size_y
      - .offset:         88
        .size:           2
        .value_kind:     hidden_group_size_z
      - .offset:         90
        .size:           2
        .value_kind:     hidden_remainder_x
      - .offset:         92
        .size:           2
        .value_kind:     hidden_remainder_y
      - .offset:         94
        .size:           2
        .value_kind:     hidden_remainder_z
      - .offset:         112
        .size:           8
        .value_kind:     hidden_global_offset_x
      - .offset:         120
        .size:           8
        .value_kind:     hidden_global_offset_y
      - .offset:         128
        .size:           8
        .value_kind:     hidden_global_offset_z
      - .offset:         136
        .size:           2
        .value_kind:     hidden_grid_dims
    .group_segment_fixed_size: 0
    .kernarg_segment_align: 8
    .kernarg_segment_size: 328
    .language:       OpenCL C
    .language_version:
      - 2
      - 0
    .max_flat_workgroup_size: 1024
    .name:           _Z17kernel_read_writePcmmmPjPmS1_S1_S1_
    .private_segment_fixed_size: 0
    .sgpr_count:     28
    .sgpr_spill_count: 0
    .symbol:         _Z17kernel_read_writePcmmmPjPmS1_S1_S1_.kd
    .uniform_work_group_size: 1
    .uses_dynamic_stack: false
    .vgpr_count:     12
    .vgpr_spill_count: 0
    .wavefront_size: 32
  - .args:
      - .address_space:  global
        .offset:         0
        .size:           8
        .value_kind:     global_buffer
      - .offset:         8
        .size:           8
        .value_kind:     by_value
      - .offset:         16
        .size:           8
        .value_kind:     by_value
      - .address_space:  global
        .offset:         24
        .size:           8
        .value_kind:     global_buffer
      - .actual_access:  write_only
        .address_space:  global
        .offset:         32
        .size:           8
        .value_kind:     global_buffer
      - .actual_access:  write_only
        .address_space:  global
        .offset:         40
        .size:           8
        .value_kind:     global_buffer
      - .actual_access:  write_only
        .address_space:  global
        .offset:         48
        .size:           8
        .value_kind:     global_buffer
      - .actual_access:  write_only
        .address_space:  global
        .offset:         56
        .size:           8
        .value_kind:     global_buffer
      - .offset:         64
        .size:           4
        .value_kind:     hidden_block_count_x
      - .offset:         68
        .size:           4
        .value_kind:     hidden_block_count_y
      - .offset:         72
        .size:           4
        .value_kind:     hidden_block_count_z
      - .offset:         76
        .size:           2
        .value_kind:     hidden_group_size_x
      - .offset:         78
        .size:           2
        .value_kind:     hidden_group_size_y
      - .offset:         80
        .size:           2
        .value_kind:     hidden_group_size_z
      - .offset:         82
        .size:           2
        .value_kind:     hidden_remainder_x
      - .offset:         84
        .size:           2
        .value_kind:     hidden_remainder_y
      - .offset:         86
        .size:           2
        .value_kind:     hidden_remainder_z
      - .offset:         104
        .size:           8
        .value_kind:     hidden_global_offset_x
      - .offset:         112
        .size:           8
        .value_kind:     hidden_global_offset_y
      - .offset:         120
        .size:           8
        .value_kind:     hidden_global_offset_z
      - .offset:         128
        .size:           2
        .value_kind:     hidden_grid_dims
    .group_segment_fixed_size: 0
    .kernarg_segment_align: 8
    .kernarg_segment_size: 320
    .language:       OpenCL C
    .language_version:
      - 2
      - 0
    .max_flat_workgroup_size: 1024
    .name:           _Z11kernel_readPKcmmPjPmS2_S2_S2_
    .private_segment_fixed_size: 0
    .sgpr_count:     26
    .sgpr_spill_count: 0
    .symbol:         _Z11kernel_readPKcmmPjPmS2_S2_S2_.kd
    .uniform_work_group_size: 1
    .uses_dynamic_stack: false
    .vgpr_count:     10
    .vgpr_spill_count: 0
    .wavefront_size: 32
  - .args:
      - .address_space:  global
        .offset:         0
        .size:           8
        .value_kind:     global_buffer
      - .offset:         8
        .size:           8
        .value_kind:     by_value
      - .offset:         16
        .size:           4
        .value_kind:     hidden_block_count_x
      - .offset:         20
        .size:           4
        .value_kind:     hidden_block_count_y
      - .offset:         24
        .size:           4
        .value_kind:     hidden_block_count_z
      - .offset:         28
        .size:           2
        .value_kind:     hidden_group_size_x
      - .offset:         30
        .size:           2
        .value_kind:     hidden_group_size_y
      - .offset:         32
        .size:           2
        .value_kind:     hidden_group_size_z
      - .offset:         34
        .size:           2
        .value_kind:     hidden_remainder_x
      - .offset:         36
        .size:           2
        .value_kind:     hidden_remainder_y
      - .offset:         38
        .size:           2
        .value_kind:     hidden_remainder_z
      - .offset:         56
        .size:           8
        .value_kind:     hidden_global_offset_x
      - .offset:         64
        .size:           8
        .value_kind:     hidden_global_offset_y
      - .offset:         72
        .size:           8
        .value_kind:     hidden_global_offset_z
      - .offset:         80
        .size:           2
        .value_kind:     hidden_grid_dims
    .group_segment_fixed_size: 0
    .kernarg_segment_align: 8
    .kernarg_segment_size: 272
    .language:       OpenCL C
    .language_version:
      - 2
      - 0
    .max_flat_workgroup_size: 1024
    .name:           _Z12kernel5_initPcm
    .private_segment_fixed_size: 0
    .sgpr_count:     12
    .sgpr_spill_count: 0
    .symbol:         _Z12kernel5_initPcm.kd
    .uniform_work_group_size: 1
    .uses_dynamic_stack: false
    .vgpr_count:     10
    .vgpr_spill_count: 0
    .wavefront_size: 32
  - .args:
      - .address_space:  global
        .offset:         0
        .size:           8
        .value_kind:     global_buffer
      - .offset:         8
        .size:           8
        .value_kind:     by_value
      - .offset:         16
        .size:           4
        .value_kind:     hidden_block_count_x
      - .offset:         20
        .size:           4
        .value_kind:     hidden_block_count_y
      - .offset:         24
        .size:           4
        .value_kind:     hidden_block_count_z
      - .offset:         28
        .size:           2
        .value_kind:     hidden_group_size_x
      - .offset:         30
        .size:           2
        .value_kind:     hidden_group_size_y
      - .offset:         32
        .size:           2
        .value_kind:     hidden_group_size_z
      - .offset:         34
        .size:           2
        .value_kind:     hidden_remainder_x
      - .offset:         36
        .size:           2
        .value_kind:     hidden_remainder_y
      - .offset:         38
        .size:           2
        .value_kind:     hidden_remainder_z
      - .offset:         56
        .size:           8
        .value_kind:     hidden_global_offset_x
      - .offset:         64
        .size:           8
        .value_kind:     hidden_global_offset_y
      - .offset:         72
        .size:           8
        .value_kind:     hidden_global_offset_z
      - .offset:         80
        .size:           2
        .value_kind:     hidden_grid_dims
    .group_segment_fixed_size: 0
    .kernarg_segment_align: 8
    .kernarg_segment_size: 272
    .language:       OpenCL C
    .language_version:
      - 2
      - 0
    .max_flat_workgroup_size: 1024
    .name:           _Z12kernel5_movePcm
    .private_segment_fixed_size: 0
    .sgpr_count:     13
    .sgpr_spill_count: 0
    .symbol:         _Z12kernel5_movePcm.kd
    .uniform_work_group_size: 1
    .uses_dynamic_stack: false
    .vgpr_count:     40
    .vgpr_spill_count: 0
    .wavefront_size: 32
  - .args:
      - .address_space:  global
        .offset:         0
        .size:           8
        .value_kind:     global_buffer
      - .offset:         8
        .size:           8
        .value_kind:     by_value
      - .address_space:  global
        .offset:         16
        .size:           8
        .value_kind:     global_buffer
      - .actual_access:  write_only
        .address_space:  global
        .offset:         24
        .size:           8
        .value_kind:     global_buffer
      - .actual_access:  write_only
        .address_space:  global
        .offset:         32
        .size:           8
        .value_kind:     global_buffer
      - .actual_access:  write_only
        .address_space:  global
        .offset:         40
        .size:           8
        .value_kind:     global_buffer
      - .actual_access:  write_only
        .address_space:  global
        .offset:         48
        .size:           8
        .value_kind:     global_buffer
      - .offset:         56
        .size:           4
        .value_kind:     hidden_block_count_x
      - .offset:         60
        .size:           4
        .value_kind:     hidden_block_count_y
      - .offset:         64
        .size:           4
        .value_kind:     hidden_block_count_z
      - .offset:         68
        .size:           2
        .value_kind:     hidden_group_size_x
      - .offset:         70
        .size:           2
        .value_kind:     hidden_group_size_y
      - .offset:         72
        .size:           2
        .value_kind:     hidden_group_size_z
      - .offset:         74
        .size:           2
        .value_kind:     hidden_remainder_x
      - .offset:         76
        .size:           2
        .value_kind:     hidden_remainder_y
      - .offset:         78
        .size:           2
        .value_kind:     hidden_remainder_z
      - .offset:         96
        .size:           8
        .value_kind:     hidden_global_offset_x
      - .offset:         104
        .size:           8
        .value_kind:     hidden_global_offset_y
      - .offset:         112
        .size:           8
        .value_kind:     hidden_global_offset_z
      - .offset:         120
        .size:           2
        .value_kind:     hidden_grid_dims
    .group_segment_fixed_size: 0
    .kernarg_segment_align: 8
    .kernarg_segment_size: 312
    .language:       OpenCL C
    .language_version:
      - 2
      - 0
    .max_flat_workgroup_size: 1024
    .name:           _Z13kernel5_checkPKcmPjPmS2_S2_S2_
    .private_segment_fixed_size: 0
    .sgpr_count:     24
    .sgpr_spill_count: 0
    .symbol:         _Z13kernel5_checkPKcmPjPmS2_S2_S2_.kd
    .uniform_work_group_size: 1
    .uses_dynamic_stack: false
    .vgpr_count:     10
    .vgpr_spill_count: 0
    .wavefront_size: 32
amdhsa.target:   amdgcn-amd-amdhsa--gfx1250
amdhsa.version:
  - 1
  - 2
...

	.end_amdgpu_metadata
